;; amdgpu-corpus repo=ROCm/rocFFT kind=compiled arch=gfx906 opt=O3
	.text
	.amdgcn_target "amdgcn-amd-amdhsa--gfx906"
	.amdhsa_code_object_version 6
	.protected	fft_rtc_back_len748_factors_17_4_11_wgs_204_tpt_68_halfLds_sp_op_CI_CI_unitstride_sbrr_C2R_dirReg ; -- Begin function fft_rtc_back_len748_factors_17_4_11_wgs_204_tpt_68_halfLds_sp_op_CI_CI_unitstride_sbrr_C2R_dirReg
	.globl	fft_rtc_back_len748_factors_17_4_11_wgs_204_tpt_68_halfLds_sp_op_CI_CI_unitstride_sbrr_C2R_dirReg
	.p2align	8
	.type	fft_rtc_back_len748_factors_17_4_11_wgs_204_tpt_68_halfLds_sp_op_CI_CI_unitstride_sbrr_C2R_dirReg,@function
fft_rtc_back_len748_factors_17_4_11_wgs_204_tpt_68_halfLds_sp_op_CI_CI_unitstride_sbrr_C2R_dirReg: ; @fft_rtc_back_len748_factors_17_4_11_wgs_204_tpt_68_halfLds_sp_op_CI_CI_unitstride_sbrr_C2R_dirReg
; %bb.0:
	s_load_dwordx4 s[8:11], s[4:5], 0x58
	s_load_dwordx4 s[12:15], s[4:5], 0x0
	;; [unrolled: 1-line block ×3, first 2 shown]
	v_mul_u32_u24_e32 v1, 0x3c4, v0
	v_lshrrev_b32_e32 v1, 16, v1
	v_mad_u64_u32 v[3:4], s[0:1], s6, 3, v[1:2]
	v_mov_b32_e32 v5, 0
	v_mov_b32_e32 v1, 0
	;; [unrolled: 1-line block ×3, first 2 shown]
	s_waitcnt lgkmcnt(0)
	v_cmp_lt_u64_e64 s[0:1], s[14:15], 2
	v_mov_b32_e32 v2, 0
	v_mov_b32_e32 v37, v2
	;; [unrolled: 1-line block ×3, first 2 shown]
	s_and_b64 vcc, exec, s[0:1]
	v_mov_b32_e32 v36, v1
	v_mov_b32_e32 v38, v3
	s_cbranch_vccnz .LBB0_8
; %bb.1:
	s_load_dwordx2 s[0:1], s[4:5], 0x10
	s_add_u32 s2, s18, 8
	s_addc_u32 s3, s19, 0
	s_add_u32 s6, s16, 8
	v_mov_b32_e32 v1, 0
	s_addc_u32 s7, s17, 0
	v_mov_b32_e32 v2, 0
	s_waitcnt lgkmcnt(0)
	s_add_u32 s20, s0, 8
	v_mov_b32_e32 v37, v2
	v_mov_b32_e32 v8, v4
	s_addc_u32 s21, s1, 0
	s_mov_b64 s[22:23], 1
	v_mov_b32_e32 v36, v1
	v_mov_b32_e32 v7, v3
.LBB0_2:                                ; =>This Inner Loop Header: Depth=1
	s_load_dwordx2 s[24:25], s[20:21], 0x0
                                        ; implicit-def: $vgpr38_vgpr39
	s_waitcnt lgkmcnt(0)
	v_or_b32_e32 v6, s25, v8
	v_cmp_ne_u64_e32 vcc, 0, v[5:6]
	s_and_saveexec_b64 s[0:1], vcc
	s_xor_b64 s[26:27], exec, s[0:1]
	s_cbranch_execz .LBB0_4
; %bb.3:                                ;   in Loop: Header=BB0_2 Depth=1
	v_cvt_f32_u32_e32 v4, s24
	v_cvt_f32_u32_e32 v6, s25
	s_sub_u32 s0, 0, s24
	s_subb_u32 s1, 0, s25
	v_mac_f32_e32 v4, 0x4f800000, v6
	v_rcp_f32_e32 v4, v4
	v_mul_f32_e32 v4, 0x5f7ffffc, v4
	v_mul_f32_e32 v6, 0x2f800000, v4
	v_trunc_f32_e32 v6, v6
	v_mac_f32_e32 v4, 0xcf800000, v6
	v_cvt_u32_f32_e32 v6, v6
	v_cvt_u32_f32_e32 v4, v4
	v_mul_lo_u32 v9, s0, v6
	v_mul_hi_u32 v10, s0, v4
	v_mul_lo_u32 v12, s1, v4
	v_mul_lo_u32 v11, s0, v4
	v_add_u32_e32 v9, v10, v9
	v_add_u32_e32 v9, v9, v12
	v_mul_hi_u32 v10, v4, v11
	v_mul_lo_u32 v12, v4, v9
	v_mul_hi_u32 v14, v4, v9
	v_mul_hi_u32 v13, v6, v11
	v_mul_lo_u32 v11, v6, v11
	v_mul_hi_u32 v15, v6, v9
	v_add_co_u32_e32 v10, vcc, v10, v12
	v_addc_co_u32_e32 v12, vcc, 0, v14, vcc
	v_mul_lo_u32 v9, v6, v9
	v_add_co_u32_e32 v10, vcc, v10, v11
	v_addc_co_u32_e32 v10, vcc, v12, v13, vcc
	v_addc_co_u32_e32 v11, vcc, 0, v15, vcc
	v_add_co_u32_e32 v9, vcc, v10, v9
	v_addc_co_u32_e32 v10, vcc, 0, v11, vcc
	v_add_co_u32_e32 v4, vcc, v4, v9
	v_addc_co_u32_e32 v6, vcc, v6, v10, vcc
	v_mul_lo_u32 v9, s0, v6
	v_mul_hi_u32 v10, s0, v4
	v_mul_lo_u32 v11, s1, v4
	v_mul_lo_u32 v12, s0, v4
	v_add_u32_e32 v9, v10, v9
	v_add_u32_e32 v9, v9, v11
	v_mul_lo_u32 v13, v4, v9
	v_mul_hi_u32 v14, v4, v12
	v_mul_hi_u32 v15, v4, v9
	;; [unrolled: 1-line block ×3, first 2 shown]
	v_mul_lo_u32 v12, v6, v12
	v_mul_hi_u32 v10, v6, v9
	v_add_co_u32_e32 v13, vcc, v14, v13
	v_addc_co_u32_e32 v14, vcc, 0, v15, vcc
	v_mul_lo_u32 v9, v6, v9
	v_add_co_u32_e32 v12, vcc, v13, v12
	v_addc_co_u32_e32 v11, vcc, v14, v11, vcc
	v_addc_co_u32_e32 v10, vcc, 0, v10, vcc
	v_add_co_u32_e32 v9, vcc, v11, v9
	v_addc_co_u32_e32 v10, vcc, 0, v10, vcc
	v_add_co_u32_e32 v4, vcc, v4, v9
	v_addc_co_u32_e32 v6, vcc, v6, v10, vcc
	v_mad_u64_u32 v[9:10], s[0:1], v7, v6, 0
	v_mul_hi_u32 v11, v7, v4
	v_add_co_u32_e32 v13, vcc, v11, v9
	v_addc_co_u32_e32 v14, vcc, 0, v10, vcc
	v_mad_u64_u32 v[9:10], s[0:1], v8, v4, 0
	v_mad_u64_u32 v[11:12], s[0:1], v8, v6, 0
	v_add_co_u32_e32 v4, vcc, v13, v9
	v_addc_co_u32_e32 v4, vcc, v14, v10, vcc
	v_addc_co_u32_e32 v6, vcc, 0, v12, vcc
	v_add_co_u32_e32 v4, vcc, v4, v11
	v_addc_co_u32_e32 v6, vcc, 0, v6, vcc
	v_mul_lo_u32 v11, s25, v4
	v_mul_lo_u32 v12, s24, v6
	v_mad_u64_u32 v[9:10], s[0:1], s24, v4, 0
	v_add3_u32 v10, v10, v12, v11
	v_sub_u32_e32 v11, v8, v10
	v_mov_b32_e32 v12, s25
	v_sub_co_u32_e32 v9, vcc, v7, v9
	v_subb_co_u32_e64 v11, s[0:1], v11, v12, vcc
	v_subrev_co_u32_e64 v12, s[0:1], s24, v9
	v_subbrev_co_u32_e64 v11, s[0:1], 0, v11, s[0:1]
	v_cmp_le_u32_e64 s[0:1], s25, v11
	v_cndmask_b32_e64 v13, 0, -1, s[0:1]
	v_cmp_le_u32_e64 s[0:1], s24, v12
	v_cndmask_b32_e64 v12, 0, -1, s[0:1]
	v_cmp_eq_u32_e64 s[0:1], s25, v11
	v_cndmask_b32_e64 v11, v13, v12, s[0:1]
	v_add_co_u32_e64 v12, s[0:1], 2, v4
	v_addc_co_u32_e64 v13, s[0:1], 0, v6, s[0:1]
	v_add_co_u32_e64 v14, s[0:1], 1, v4
	v_addc_co_u32_e64 v15, s[0:1], 0, v6, s[0:1]
	v_subb_co_u32_e32 v10, vcc, v8, v10, vcc
	v_cmp_ne_u32_e64 s[0:1], 0, v11
	v_cmp_le_u32_e32 vcc, s25, v10
	v_cndmask_b32_e64 v11, v15, v13, s[0:1]
	v_cndmask_b32_e64 v13, 0, -1, vcc
	v_cmp_le_u32_e32 vcc, s24, v9
	v_cndmask_b32_e64 v9, 0, -1, vcc
	v_cmp_eq_u32_e32 vcc, s25, v10
	v_cndmask_b32_e32 v9, v13, v9, vcc
	v_cmp_ne_u32_e32 vcc, 0, v9
	v_cndmask_b32_e32 v39, v6, v11, vcc
	v_cndmask_b32_e64 v6, v14, v12, s[0:1]
	v_cndmask_b32_e32 v38, v4, v6, vcc
.LBB0_4:                                ;   in Loop: Header=BB0_2 Depth=1
	s_andn2_saveexec_b64 s[0:1], s[26:27]
	s_cbranch_execz .LBB0_6
; %bb.5:                                ;   in Loop: Header=BB0_2 Depth=1
	v_cvt_f32_u32_e32 v4, s24
	s_sub_i32 s26, 0, s24
	v_mov_b32_e32 v39, v5
	v_rcp_iflag_f32_e32 v4, v4
	v_mul_f32_e32 v4, 0x4f7ffffe, v4
	v_cvt_u32_f32_e32 v4, v4
	v_mul_lo_u32 v6, s26, v4
	v_mul_hi_u32 v6, v4, v6
	v_add_u32_e32 v4, v4, v6
	v_mul_hi_u32 v4, v7, v4
	v_mul_lo_u32 v6, v4, s24
	v_add_u32_e32 v9, 1, v4
	v_sub_u32_e32 v6, v7, v6
	v_subrev_u32_e32 v10, s24, v6
	v_cmp_le_u32_e32 vcc, s24, v6
	v_cndmask_b32_e32 v6, v6, v10, vcc
	v_cndmask_b32_e32 v4, v4, v9, vcc
	v_add_u32_e32 v9, 1, v4
	v_cmp_le_u32_e32 vcc, s24, v6
	v_cndmask_b32_e32 v38, v4, v9, vcc
.LBB0_6:                                ;   in Loop: Header=BB0_2 Depth=1
	s_or_b64 exec, exec, s[0:1]
	v_mul_lo_u32 v4, v39, s24
	v_mul_lo_u32 v6, v38, s25
	v_mad_u64_u32 v[9:10], s[0:1], v38, s24, 0
	s_load_dwordx2 s[0:1], s[6:7], 0x0
	s_load_dwordx2 s[24:25], s[2:3], 0x0
	v_add3_u32 v4, v10, v6, v4
	v_sub_co_u32_e32 v6, vcc, v7, v9
	v_subb_co_u32_e32 v4, vcc, v8, v4, vcc
	s_waitcnt lgkmcnt(0)
	v_mul_lo_u32 v7, s0, v4
	v_mul_lo_u32 v8, s1, v6
	v_mad_u64_u32 v[1:2], s[0:1], s0, v6, v[1:2]
	s_add_u32 s22, s22, 1
	s_addc_u32 s23, s23, 0
	s_add_u32 s2, s2, 8
	v_mul_lo_u32 v4, s24, v4
	v_mul_lo_u32 v9, s25, v6
	v_mad_u64_u32 v[36:37], s[0:1], s24, v6, v[36:37]
	v_add3_u32 v2, v8, v2, v7
	s_addc_u32 s3, s3, 0
	v_mov_b32_e32 v6, s14
	s_add_u32 s6, s6, 8
	v_mov_b32_e32 v7, s15
	s_addc_u32 s7, s7, 0
	v_cmp_ge_u64_e32 vcc, s[22:23], v[6:7]
	s_add_u32 s20, s20, 8
	v_add3_u32 v37, v9, v37, v4
	s_addc_u32 s21, s21, 0
	s_cbranch_vccnz .LBB0_8
; %bb.7:                                ;   in Loop: Header=BB0_2 Depth=1
	v_mov_b32_e32 v7, v38
	v_mov_b32_e32 v8, v39
	s_branch .LBB0_2
.LBB0_8:
	s_mov_b32 s0, 0xaaaaaaab
	s_load_dwordx2 s[4:5], s[4:5], 0x28
	v_mul_hi_u32 v4, v3, s0
	s_lshl_b64 s[6:7], s[14:15], 3
	s_add_u32 s2, s18, s6
	s_addc_u32 s3, s19, s7
	v_lshrrev_b32_e32 v4, 1, v4
	v_lshl_add_u32 v4, v4, 1, v4
	s_waitcnt lgkmcnt(0)
	v_cmp_gt_u64_e64 s[0:1], s[4:5], v[38:39]
	v_cmp_le_u64_e32 vcc, s[4:5], v[38:39]
	v_sub_u32_e32 v3, v3, v4
                                        ; implicit-def: $vgpr40
	s_and_saveexec_b64 s[4:5], vcc
	s_xor_b64 s[4:5], exec, s[4:5]
; %bb.9:
	s_mov_b32 s14, 0x3c3c3c4
	v_mul_hi_u32 v1, v0, s14
	v_mul_u32_u24_e32 v1, 0x44, v1
	v_sub_u32_e32 v40, v0, v1
                                        ; implicit-def: $vgpr0
                                        ; implicit-def: $vgpr1_vgpr2
; %bb.10:
	s_or_saveexec_b64 s[4:5], s[4:5]
	s_load_dwordx2 s[2:3], s[2:3], 0x0
	v_mul_u32_u24_e32 v3, 0x2ed, v3
	v_lshlrev_b32_e32 v58, 3, v3
	s_xor_b64 exec, exec, s[4:5]
	s_cbranch_execz .LBB0_14
; %bb.11:
	s_add_u32 s6, s16, s6
	s_addc_u32 s7, s17, s7
	s_load_dwordx2 s[6:7], s[6:7], 0x0
	s_mov_b32 s14, 0x3c3c3c4
	v_mul_hi_u32 v6, v0, s14
	v_lshlrev_b64 v[1:2], 3, v[1:2]
	s_waitcnt lgkmcnt(0)
	v_mul_lo_u32 v7, s7, v38
	v_mul_lo_u32 v8, s6, v39
	v_mad_u64_u32 v[4:5], s[6:7], s6, v38, 0
	v_mul_u32_u24_e32 v6, 0x44, v6
	v_sub_u32_e32 v40, v0, v6
	v_add3_u32 v5, v5, v8, v7
	v_lshlrev_b64 v[4:5], 3, v[4:5]
	v_mov_b32_e32 v0, s9
	v_add_co_u32_e32 v4, vcc, s8, v4
	v_addc_co_u32_e32 v0, vcc, v0, v5, vcc
	v_add_co_u32_e32 v1, vcc, v4, v1
	v_addc_co_u32_e32 v0, vcc, v0, v2, vcc
	v_lshlrev_b32_e32 v2, 3, v40
	v_add_co_u32_e32 v4, vcc, v1, v2
	v_addc_co_u32_e32 v5, vcc, 0, v0, vcc
	v_add_co_u32_e32 v14, vcc, 0x1000, v4
	global_load_dwordx2 v[6:7], v[4:5], off
	global_load_dwordx2 v[8:9], v[4:5], off offset:544
	global_load_dwordx2 v[10:11], v[4:5], off offset:1088
	;; [unrolled: 1-line block ×3, first 2 shown]
	v_addc_co_u32_e32 v15, vcc, 0, v5, vcc
	global_load_dwordx2 v[16:17], v[4:5], off offset:2176
	global_load_dwordx2 v[18:19], v[4:5], off offset:2720
	;; [unrolled: 1-line block ×7, first 2 shown]
	s_movk_i32 s6, 0x43
	v_add3_u32 v2, 0, v58, v2
	v_cmp_eq_u32_e32 vcc, s6, v40
	v_add_u32_e32 v4, 0x800, v2
	v_add_u32_e32 v5, 0x1000, v2
	s_waitcnt vmcnt(9)
	ds_write2_b64 v2, v[6:7], v[8:9] offset1:68
	s_waitcnt vmcnt(7)
	ds_write2_b64 v2, v[10:11], v[12:13] offset0:136 offset1:204
	s_waitcnt vmcnt(5)
	ds_write2_b64 v4, v[16:17], v[18:19] offset0:16 offset1:84
	;; [unrolled: 2-line block ×4, first 2 shown]
	s_waitcnt vmcnt(0)
	ds_write_b64 v2, v[28:29] offset:5440
	s_and_saveexec_b64 s[6:7], vcc
	s_cbranch_execz .LBB0_13
; %bb.12:
	v_add_co_u32_e32 v4, vcc, 0x1000, v1
	v_addc_co_u32_e32 v5, vcc, 0, v0, vcc
	global_load_dwordx2 v[0:1], v[4:5], off offset:1888
	v_mov_b32_e32 v40, 0x43
	s_waitcnt vmcnt(0)
	ds_write_b64 v2, v[0:1] offset:5448
.LBB0_13:
	s_or_b64 exec, exec, s[6:7]
.LBB0_14:
	s_or_b64 exec, exec, s[4:5]
	v_lshl_add_u32 v55, v3, 3, 0
	v_lshlrev_b32_e32 v4, 3, v40
	v_add_u32_e32 v57, v55, v4
	s_waitcnt lgkmcnt(0)
	s_barrier
	v_sub_u32_e32 v5, v55, v4
	ds_read_b32 v6, v57
	ds_read_b32 v7, v5 offset:5984
	s_add_u32 s6, s12, 0x16d8
	s_addc_u32 s7, s13, 0
	v_cmp_ne_u32_e32 vcc, 0, v40
                                        ; implicit-def: $vgpr0_vgpr1
	s_waitcnt lgkmcnt(0)
	v_add_f32_e32 v2, v7, v6
	v_sub_f32_e32 v3, v6, v7
	s_and_saveexec_b64 s[4:5], vcc
	s_xor_b64 s[4:5], exec, s[4:5]
	s_cbranch_execz .LBB0_16
; %bb.15:
	v_mov_b32_e32 v41, 0
	v_lshlrev_b64 v[0:1], 3, v[40:41]
	v_mov_b32_e32 v2, s7
	v_add_co_u32_e32 v0, vcc, s6, v0
	v_addc_co_u32_e32 v1, vcc, v2, v1, vcc
	global_load_dwordx2 v[0:1], v[0:1], off
	ds_read_b32 v2, v5 offset:5988
	ds_read_b32 v3, v57 offset:4
	v_add_f32_e32 v8, v7, v6
	v_sub_f32_e32 v9, v6, v7
	s_waitcnt lgkmcnt(0)
	v_add_f32_e32 v10, v2, v3
	v_sub_f32_e32 v2, v3, v2
	s_waitcnt vmcnt(0)
	v_fma_f32 v11, v9, v1, v8
	v_fma_f32 v3, v10, v1, v2
	v_fma_f32 v6, -v9, v1, v8
	v_fma_f32 v7, v10, v1, -v2
	v_fma_f32 v2, -v0, v10, v11
	v_fmac_f32_e32 v3, v9, v0
	v_fmac_f32_e32 v6, v0, v10
	;; [unrolled: 1-line block ×3, first 2 shown]
	v_mov_b32_e32 v0, v40
	ds_write_b64 v5, v[6:7] offset:5984
	v_mov_b32_e32 v1, v41
.LBB0_16:
	s_andn2_saveexec_b64 s[4:5], s[4:5]
	s_cbranch_execz .LBB0_18
; %bb.17:
	ds_read_b64 v[0:1], v55 offset:2992
	s_waitcnt lgkmcnt(0)
	v_add_f32_e32 v6, v0, v0
	v_mul_f32_e32 v7, -2.0, v1
	v_mov_b32_e32 v0, 0
	v_mov_b32_e32 v1, 0
	ds_write_b64 v55, v[6:7] offset:2992
.LBB0_18:
	s_or_b64 exec, exec, s[4:5]
	v_lshlrev_b64 v[0:1], 3, v[0:1]
	v_mov_b32_e32 v6, s7
	v_add_co_u32_e32 v0, vcc, s6, v0
	v_addc_co_u32_e32 v1, vcc, v6, v1, vcc
	global_load_dwordx2 v[6:7], v[0:1], off offset:544
	global_load_dwordx2 v[8:9], v[0:1], off offset:1088
	;; [unrolled: 1-line block ×4, first 2 shown]
	ds_write_b64 v57, v[2:3]
	ds_read_b64 v[2:3], v57 offset:544
	ds_read_b64 v[14:15], v5 offset:5440
	v_cmp_gt_u32_e32 vcc, 34, v40
	s_waitcnt lgkmcnt(0)
	v_add_f32_e32 v16, v2, v14
	v_add_f32_e32 v17, v15, v3
	v_sub_f32_e32 v18, v2, v14
	v_sub_f32_e32 v14, v3, v15
	s_waitcnt vmcnt(3)
	v_fma_f32 v19, v18, v7, v16
	v_fma_f32 v15, v17, v7, v14
	v_fma_f32 v2, -v18, v7, v16
	v_fma_f32 v3, v17, v7, -v14
	v_fma_f32 v14, -v6, v17, v19
	v_fmac_f32_e32 v15, v18, v6
	v_fmac_f32_e32 v2, v6, v17
	v_fmac_f32_e32 v3, v18, v6
	ds_write_b64 v57, v[14:15] offset:544
	ds_write_b64 v5, v[2:3] offset:5440
	ds_read_b64 v[2:3], v57 offset:1088
	ds_read_b64 v[6:7], v5 offset:4896
	s_waitcnt lgkmcnt(0)
	v_add_f32_e32 v14, v2, v6
	v_add_f32_e32 v15, v7, v3
	v_sub_f32_e32 v16, v2, v6
	v_sub_f32_e32 v2, v3, v7
	s_waitcnt vmcnt(2)
	v_fma_f32 v17, v16, v9, v14
	v_fma_f32 v3, v15, v9, v2
	v_fma_f32 v6, -v16, v9, v14
	v_fma_f32 v7, v15, v9, -v2
	v_fma_f32 v2, -v8, v15, v17
	v_fmac_f32_e32 v3, v16, v8
	v_fmac_f32_e32 v6, v8, v15
	v_fmac_f32_e32 v7, v16, v8
	ds_write_b64 v57, v[2:3] offset:1088
	ds_write_b64 v5, v[6:7] offset:4896
	ds_read_b64 v[2:3], v57 offset:1632
	ds_read_b64 v[6:7], v5 offset:4352
	;; [unrolled: 18-line block ×3, first 2 shown]
	s_waitcnt lgkmcnt(0)
	v_add_f32_e32 v8, v2, v6
	v_add_f32_e32 v9, v7, v3
	v_sub_f32_e32 v10, v2, v6
	v_sub_f32_e32 v2, v3, v7
	s_waitcnt vmcnt(0)
	v_fma_f32 v11, v10, v13, v8
	v_fma_f32 v3, v9, v13, v2
	v_fma_f32 v6, -v10, v13, v8
	v_fma_f32 v7, v9, v13, -v2
	v_fma_f32 v2, -v12, v9, v11
	v_fmac_f32_e32 v3, v10, v12
	v_fmac_f32_e32 v6, v12, v9
	;; [unrolled: 1-line block ×3, first 2 shown]
	ds_write_b64 v57, v[2:3] offset:2176
	ds_write_b64 v5, v[6:7] offset:3808
	s_and_saveexec_b64 s[4:5], vcc
	s_cbranch_execz .LBB0_20
; %bb.19:
	global_load_dwordx2 v[0:1], v[0:1], off offset:2720
	ds_read_b64 v[2:3], v57 offset:2720
	ds_read_b64 v[6:7], v5 offset:3264
	s_waitcnt lgkmcnt(0)
	v_add_f32_e32 v8, v2, v6
	v_add_f32_e32 v9, v7, v3
	v_sub_f32_e32 v10, v2, v6
	v_sub_f32_e32 v3, v3, v7
	s_waitcnt vmcnt(0)
	v_fma_f32 v11, v10, v1, v8
	v_fma_f32 v2, v9, v1, v3
	v_fma_f32 v6, -v10, v1, v8
	v_fma_f32 v7, v9, v1, -v3
	v_fma_f32 v1, -v0, v9, v11
	v_fmac_f32_e32 v2, v10, v0
	v_fmac_f32_e32 v6, v0, v9
	;; [unrolled: 1-line block ×3, first 2 shown]
	ds_write_b64 v57, v[1:2] offset:2720
	ds_write_b64 v5, v[6:7] offset:3264
.LBB0_20:
	s_or_b64 exec, exec, s[4:5]
	v_add3_u32 v56, 0, v4, v58
	v_add_u32_e32 v59, 0x400, v56
	v_add_u32_e32 v0, 0x800, v56
	;; [unrolled: 1-line block ×3, first 2 shown]
	s_waitcnt lgkmcnt(0)
	s_barrier
	s_barrier
	ds_read_b64 v[41:42], v57
	ds_read2_b64 v[32:35], v56 offset0:44 offset1:88
	ds_read2_b64 v[28:31], v56 offset0:132 offset1:176
	;; [unrolled: 1-line block ×6, first 2 shown]
	s_mov_b32 s6, 0xbf1a4643
	v_add_u32_e32 v60, 0xc00, v56
	s_mov_b32 s9, 0xbe8c1d8e
	s_waitcnt lgkmcnt(1)
	v_sub_f32_e32 v69, v33, v7
	v_add_f32_e32 v61, v6, v32
	v_add_f32_e32 v71, v7, v33
	v_mul_f32_e32 v49, 0xbf4c4adb, v69
	v_sub_f32_e32 v73, v35, v5
	v_mul_f32_e32 v50, 0xbf1a4643, v71
	v_fma_f32 v0, v61, s6, -v49
	v_add_f32_e32 v63, v4, v34
	v_add_f32_e32 v75, v5, v35
	v_mul_f32_e32 v51, 0x3f763a35, v73
	ds_read2_b64 v[12:15], v60 offset0:100 offset1:144
	ds_read2_b64 v[8:11], v1 offset0:60 offset1:104
	v_sub_f32_e32 v62, v32, v6
	v_add_f32_e32 v0, v41, v0
	v_mov_b32_e32 v1, v50
	v_mul_f32_e32 v52, 0xbe8c1d8e, v75
	v_fma_f32 v53, v63, s9, -v51
	v_fmac_f32_e32 v1, 0xbf4c4adb, v62
	v_sub_f32_e32 v64, v34, v4
	v_add_f32_e32 v0, v53, v0
	v_mov_b32_e32 v53, v52
	v_add_f32_e32 v1, v42, v1
	s_mov_b32 s7, 0xbf59a7d5
	v_mul_f32_e32 v47, 0xbf06c442, v69
	v_fmac_f32_e32 v53, 0x3f763a35, v64
	v_mul_f32_e32 v48, 0xbf59a7d5, v71
	v_fma_f32 v2, v61, s7, -v47
	v_add_f32_e32 v1, v53, v1
	s_mov_b32 s14, 0x3ee437d1
	v_mul_f32_e32 v53, 0x3f65296c, v73
	v_add_f32_e32 v2, v41, v2
	v_mov_b32_e32 v3, v48
	v_mul_f32_e32 v94, 0x3ee437d1, v75
	v_fma_f32 v54, v63, s14, -v53
	v_fmac_f32_e32 v3, 0xbf06c442, v62
	v_add_f32_e32 v2, v54, v2
	v_mov_b32_e32 v54, v94
	v_add_f32_e32 v3, v42, v3
	v_mul_f32_e32 v43, 0xbe3c28d5, v69
	v_fmac_f32_e32 v54, 0x3f65296c, v64
	v_mov_b32_e32 v44, v43
	v_add_f32_e32 v3, v54, v3
	v_mul_f32_e32 v54, 0x3eb8f4ab, v73
	v_fmac_f32_e32 v44, 0xbf7ba420, v61
	v_mov_b32_e32 v65, v54
	s_mov_b32 s8, 0xbf7ba420
	v_add_f32_e32 v44, v41, v44
	v_mul_f32_e32 v45, 0xbf7ba420, v71
	v_fmac_f32_e32 v65, 0x3f6eb680, v63
	v_mov_b32_e32 v46, v45
	v_fma_f32 v43, v61, s8, -v43
	v_fmac_f32_e32 v45, 0xbe3c28d5, v62
	s_mov_b32 s15, 0x3f6eb680
	v_add_f32_e32 v44, v65, v44
	v_mul_f32_e32 v65, 0x3f6eb680, v75
	v_add_f32_e32 v43, v41, v43
	v_add_f32_e32 v45, v42, v45
	v_mov_b32_e32 v66, v65
	v_fma_f32 v54, v63, s15, -v54
	v_fmac_f32_e32 v65, 0x3eb8f4ab, v64
	s_waitcnt lgkmcnt(0)
	v_sub_f32_e32 v77, v29, v11
	v_fmac_f32_e32 v46, 0x3e3c28d5, v62
	v_add_f32_e32 v43, v54, v43
	v_add_f32_e32 v45, v65, v45
	v_add_f32_e32 v65, v10, v28
	v_add_f32_e32 v79, v11, v29
	v_mul_f32_e32 v54, 0xbeb8f4ab, v77
	v_add_f32_e32 v46, v42, v46
	v_fmac_f32_e32 v66, 0xbeb8f4ab, v64
	v_mul_f32_e32 v93, 0x3f6eb680, v79
	v_fma_f32 v67, v65, s15, -v54
	v_add_f32_e32 v46, v66, v46
	v_sub_f32_e32 v66, v28, v10
	v_add_f32_e32 v0, v67, v0
	v_mov_b32_e32 v67, v93
	v_fmac_f32_e32 v67, 0xbeb8f4ab, v66
	s_mov_b32 s16, 0x3dbcf732
	v_mul_f32_e32 v95, 0xbf7ee86f, v77
	v_add_f32_e32 v1, v67, v1
	v_mul_f32_e32 v98, 0x3dbcf732, v79
	v_fma_f32 v67, v65, s16, -v95
	v_add_f32_e32 v2, v67, v2
	v_mov_b32_e32 v67, v98
	v_fmac_f32_e32 v67, 0xbf7ee86f, v66
	v_add_f32_e32 v3, v67, v3
	v_mul_f32_e32 v67, 0xbf06c442, v77
	v_mov_b32_e32 v68, v67
	v_fmac_f32_e32 v68, 0xbf59a7d5, v65
	v_add_f32_e32 v44, v68, v44
	v_mul_f32_e32 v68, 0xbf59a7d5, v79
	v_mov_b32_e32 v70, v68
	v_fma_f32 v67, v65, s7, -v67
	v_sub_f32_e32 v81, v31, v9
	v_fmac_f32_e32 v70, 0x3f06c442, v66
	v_add_f32_e32 v43, v67, v43
	v_add_f32_e32 v67, v8, v30
	;; [unrolled: 1-line block ×3, first 2 shown]
	v_mul_f32_e32 v96, 0xbf06c442, v81
	v_add_f32_e32 v46, v70, v46
	v_fmac_f32_e32 v68, 0xbf06c442, v66
	v_mul_f32_e32 v97, 0xbf59a7d5, v83
	v_fma_f32 v70, v67, s7, -v96
	v_add_f32_e32 v45, v68, v45
	v_sub_f32_e32 v68, v30, v8
	v_add_f32_e32 v0, v70, v0
	v_mov_b32_e32 v70, v97
	v_fmac_f32_e32 v70, 0xbf06c442, v68
	v_mul_f32_e32 v99, 0x3f4c4adb, v81
	v_add_f32_e32 v1, v70, v1
	v_mul_f32_e32 v102, 0xbf1a4643, v83
	v_fma_f32 v70, v67, s6, -v99
	v_add_f32_e32 v2, v70, v2
	v_mov_b32_e32 v70, v102
	v_fmac_f32_e32 v70, 0x3f4c4adb, v68
	v_add_f32_e32 v3, v70, v3
	v_mul_f32_e32 v70, 0x3f2c7751, v81
	v_mov_b32_e32 v72, v70
	v_fmac_f32_e32 v72, 0x3f3d2fb0, v67
	s_mov_b32 s17, 0x3f3d2fb0
	v_add_f32_e32 v44, v72, v44
	v_mul_f32_e32 v72, 0x3f3d2fb0, v83
	v_mov_b32_e32 v74, v72
	v_fma_f32 v70, v67, s17, -v70
	v_sub_f32_e32 v85, v25, v15
	v_fmac_f32_e32 v74, 0xbf2c7751, v68
	v_add_f32_e32 v43, v70, v43
	v_add_f32_e32 v70, v14, v24
	v_add_f32_e32 v86, v15, v25
	v_mul_f32_e32 v100, 0x3f7ee86f, v85
	v_add_f32_e32 v46, v74, v46
	v_fmac_f32_e32 v72, 0x3f2c7751, v68
	v_mul_f32_e32 v101, 0x3dbcf732, v86
	v_fma_f32 v74, v70, s16, -v100
	v_add_f32_e32 v45, v72, v45
	v_sub_f32_e32 v72, v24, v14
	v_add_f32_e32 v0, v74, v0
	v_mov_b32_e32 v74, v101
	v_fmac_f32_e32 v74, 0x3f7ee86f, v72
	v_mul_f32_e32 v103, 0xbeb8f4ab, v85
	v_add_f32_e32 v1, v74, v1
	v_mul_f32_e32 v106, 0x3f6eb680, v86
	v_fma_f32 v74, v70, s15, -v103
	v_add_f32_e32 v2, v74, v2
	v_mov_b32_e32 v74, v106
	v_fmac_f32_e32 v74, 0xbeb8f4ab, v72
	v_add_f32_e32 v3, v74, v3
	v_mul_f32_e32 v74, 0xbf4c4adb, v85
	v_mov_b32_e32 v76, v74
	v_fmac_f32_e32 v76, 0xbf1a4643, v70
	v_add_f32_e32 v44, v76, v44
	v_mul_f32_e32 v76, 0xbf1a4643, v86
	v_mov_b32_e32 v78, v76
	v_fma_f32 v74, v70, s6, -v74
	v_sub_f32_e32 v87, v27, v13
	v_fmac_f32_e32 v78, 0x3f4c4adb, v72
	v_add_f32_e32 v43, v74, v43
	v_add_f32_e32 v74, v12, v26
	v_add_f32_e32 v88, v13, v27
	v_mul_f32_e32 v104, 0xbf2c7751, v87
	v_add_f32_e32 v46, v78, v46
	v_fmac_f32_e32 v76, 0xbf4c4adb, v72
	v_mul_f32_e32 v105, 0x3f3d2fb0, v88
	v_fma_f32 v78, v74, s17, -v104
	v_add_f32_e32 v45, v76, v45
	v_sub_f32_e32 v76, v26, v12
	v_add_f32_e32 v0, v78, v0
	v_mov_b32_e32 v78, v105
	v_fmac_f32_e32 v78, 0xbf2c7751, v76
	v_mul_f32_e32 v107, 0xbe3c28d5, v87
	v_add_f32_e32 v1, v78, v1
	v_mul_f32_e32 v110, 0xbf7ba420, v88
	v_fma_f32 v78, v74, s8, -v107
	v_add_f32_e32 v2, v78, v2
	v_mov_b32_e32 v78, v110
	v_fmac_f32_e32 v78, 0xbe3c28d5, v76
	v_add_f32_e32 v3, v78, v3
	v_mul_f32_e32 v78, 0x3f65296c, v87
	v_mov_b32_e32 v80, v78
	v_fmac_f32_e32 v80, 0x3ee437d1, v74
	v_add_f32_e32 v44, v80, v44
	v_mul_f32_e32 v80, 0x3ee437d1, v88
	v_mov_b32_e32 v82, v80
	v_fma_f32 v78, v74, s14, -v78
	v_sub_f32_e32 v89, v21, v19
	v_fmac_f32_e32 v82, 0xbf65296c, v76
	v_add_f32_e32 v43, v78, v43
	v_add_f32_e32 v78, v18, v20
	v_add_f32_e32 v90, v19, v21
	v_mul_f32_e32 v108, 0xbe3c28d5, v89
	v_add_f32_e32 v46, v82, v46
	v_fmac_f32_e32 v80, 0x3f65296c, v76
	v_mul_f32_e32 v109, 0xbf7ba420, v90
	v_fma_f32 v82, v78, s8, -v108
	v_add_f32_e32 v45, v80, v45
	v_sub_f32_e32 v80, v20, v18
	v_add_f32_e32 v0, v82, v0
	v_mov_b32_e32 v82, v109
	v_fmac_f32_e32 v82, 0xbe3c28d5, v80
	v_mul_f32_e32 v111, 0x3f2c7751, v89
	v_add_f32_e32 v1, v82, v1
	v_mul_f32_e32 v114, 0x3f3d2fb0, v90
	v_fma_f32 v82, v78, s17, -v111
	v_add_f32_e32 v2, v82, v2
	v_mov_b32_e32 v82, v114
	v_fmac_f32_e32 v82, 0x3f2c7751, v80
	v_add_f32_e32 v3, v82, v3
	v_mul_f32_e32 v82, 0xbf763a35, v89
	v_mov_b32_e32 v84, v82
	v_fmac_f32_e32 v84, 0xbe8c1d8e, v78
	v_add_f32_e32 v117, v84, v44
	v_mul_f32_e32 v44, 0xbe8c1d8e, v90
	v_mov_b32_e32 v84, v44
	v_fmac_f32_e32 v84, 0x3f763a35, v80
	v_sub_f32_e32 v92, v23, v17
	v_add_f32_e32 v118, v84, v46
	v_fma_f32 v46, v78, s9, -v82
	v_add_f32_e32 v82, v16, v22
	v_add_f32_e32 v91, v17, v23
	v_mul_f32_e32 v112, 0x3f65296c, v92
	v_add_f32_e32 v119, v46, v43
	v_mul_f32_e32 v113, 0x3ee437d1, v91
	v_fma_f32 v43, v82, s14, -v112
	v_sub_f32_e32 v84, v22, v16
	v_add_f32_e32 v43, v43, v0
	v_mov_b32_e32 v0, v113
	v_fmac_f32_e32 v44, 0xbf763a35, v80
	v_fmac_f32_e32 v0, 0x3f65296c, v84
	v_mul_f32_e32 v115, 0xbf763a35, v92
	v_add_f32_e32 v120, v44, v45
	v_add_f32_e32 v44, v0, v1
	v_mul_f32_e32 v116, 0xbe8c1d8e, v91
	v_fma_f32 v0, v82, s9, -v115
	v_add_f32_e32 v45, v0, v2
	v_mov_b32_e32 v0, v116
	v_fmac_f32_e32 v0, 0xbf763a35, v84
	v_add_f32_e32 v46, v0, v3
	v_mul_f32_e32 v2, 0x3f7ee86f, v92
	v_mul_f32_e32 v3, 0x3dbcf732, v91
	v_mov_b32_e32 v0, v2
	v_mov_b32_e32 v1, v3
	v_fmac_f32_e32 v0, 0x3dbcf732, v82
	v_fmac_f32_e32 v1, 0xbf7ee86f, v84
	v_fma_f32 v2, v82, s16, -v2
	v_fmac_f32_e32 v3, 0x3f7ee86f, v84
	v_add_f32_e32 v0, v0, v117
	v_add_f32_e32 v1, v1, v118
	;; [unrolled: 1-line block ×4, first 2 shown]
	v_cmp_gt_u32_e32 vcc, 44, v40
	s_barrier
	s_and_saveexec_b64 s[4:5], vcc
	s_cbranch_execz .LBB0_22
; %bb.21:
	v_mul_f32_e32 v120, 0xbf06c442, v62
	v_mul_f32_e32 v124, 0x3f65296c, v64
	v_sub_f32_e32 v48, v48, v120
	v_sub_f32_e32 v94, v94, v124
	v_add_f32_e32 v48, v42, v48
	v_add_f32_e32 v48, v94, v48
	v_mul_f32_e32 v94, 0xbf7ee86f, v66
	v_sub_f32_e32 v94, v98, v94
	v_add_f32_e32 v48, v94, v48
	v_mul_f32_e32 v94, 0x3f4c4adb, v68
	v_sub_f32_e32 v94, v102, v94
	v_add_f32_e32 v48, v94, v48
	v_mul_f32_e32 v94, 0xbeb8f4ab, v72
	v_mul_f32_e32 v119, 0xbf59a7d5, v61
	v_sub_f32_e32 v94, v106, v94
	v_mul_f32_e32 v117, 0xbf1a4643, v61
	v_mul_f32_e32 v123, 0x3ee437d1, v63
	v_add_f32_e32 v48, v94, v48
	v_mul_f32_e32 v94, 0xbe3c28d5, v76
	v_add_f32_e32 v47, v119, v47
	v_mul_f32_e32 v118, 0xbf4c4adb, v62
	v_mul_f32_e32 v121, 0xbe8c1d8e, v63
	v_mul_f32_e32 v98, 0x3dbcf732, v65
	v_sub_f32_e32 v94, v110, v94
	v_add_f32_e32 v53, v123, v53
	v_add_f32_e32 v47, v41, v47
	;; [unrolled: 1-line block ×3, first 2 shown]
	v_mul_f32_e32 v122, 0x3f763a35, v64
	v_mul_f32_e32 v120, 0x3f6eb680, v65
	;; [unrolled: 1-line block ×3, first 2 shown]
	v_add_f32_e32 v48, v94, v48
	v_mul_f32_e32 v94, 0x3f2c7751, v80
	v_add_f32_e32 v47, v53, v47
	v_add_f32_e32 v95, v98, v95
	v_sub_f32_e32 v50, v50, v118
	v_add_f32_e32 v49, v41, v49
	v_add_f32_e32 v51, v121, v51
	v_mul_f32_e32 v124, 0xbeb8f4ab, v66
	v_mul_f32_e32 v102, 0xbf59a7d5, v67
	v_sub_f32_e32 v94, v114, v94
	v_mul_f32_e32 v119, 0x3f6eb680, v70
	v_add_f32_e32 v47, v95, v47
	v_add_f32_e32 v99, v110, v99
	;; [unrolled: 1-line block ×3, first 2 shown]
	v_sub_f32_e32 v52, v52, v122
	v_add_f32_e32 v49, v51, v49
	v_add_f32_e32 v51, v120, v54
	v_mul_f32_e32 v106, 0xbf06c442, v68
	v_mul_f32_e32 v114, 0x3dbcf732, v70
	v_add_f32_e32 v48, v94, v48
	v_mul_f32_e32 v94, 0xbf763a35, v84
	v_mul_f32_e32 v98, 0xbf7ba420, v74
	v_add_f32_e32 v47, v99, v47
	v_add_f32_e32 v103, v119, v103
	v_add_f32_e32 v50, v52, v50
	v_sub_f32_e32 v52, v93, v124
	v_add_f32_e32 v49, v51, v49
	v_add_f32_e32 v51, v102, v96
	v_sub_f32_e32 v94, v116, v94
	v_mul_f32_e32 v116, 0x3f7ee86f, v72
	v_mul_f32_e32 v123, 0x3f3d2fb0, v74
	;; [unrolled: 1-line block ×3, first 2 shown]
	v_add_f32_e32 v47, v103, v47
	v_add_f32_e32 v98, v98, v107
	v_add_f32_e32 v50, v52, v50
	v_sub_f32_e32 v52, v97, v106
	v_add_f32_e32 v49, v51, v49
	v_add_f32_e32 v51, v114, v100
	v_mul_f32_e32 v53, 0xbf2c7751, v76
	v_mul_f32_e32 v95, 0xbf7ba420, v78
	;; [unrolled: 1-line block ×3, first 2 shown]
	v_add_f32_e32 v48, v94, v48
	v_add_f32_e32 v47, v98, v47
	v_add_f32_e32 v94, v99, v111
	v_add_f32_e32 v50, v52, v50
	v_sub_f32_e32 v52, v101, v116
	v_add_f32_e32 v49, v51, v49
	v_add_f32_e32 v51, v123, v104
	v_mul_f32_e32 v110, 0xbe3c28d5, v80
	v_mul_f32_e32 v119, 0x3ee437d1, v82
	v_add_f32_e32 v47, v94, v47
	v_add_f32_e32 v94, v107, v115
	;; [unrolled: 1-line block ×3, first 2 shown]
	v_sub_f32_e32 v52, v105, v53
	v_add_f32_e32 v49, v51, v49
	v_add_f32_e32 v51, v95, v108
	v_mul_f32_e32 v103, 0x3f65296c, v84
	v_add_f32_e32 v47, v94, v47
	v_add_f32_e32 v50, v52, v50
	v_sub_f32_e32 v52, v109, v110
	v_add_f32_e32 v49, v51, v49
	v_add_f32_e32 v51, v119, v112
	v_mul_f32_e32 v94, 0xbe8c1d8e, v71
	v_add_f32_e32 v50, v52, v50
	v_sub_f32_e32 v52, v113, v103
	v_add_f32_e32 v49, v51, v49
	v_mov_b32_e32 v51, v94
	v_mul_f32_e32 v95, 0xbf59a7d5, v75
	v_add_f32_e32 v50, v52, v50
	v_fmac_f32_e32 v51, 0x3f763a35, v62
	v_mov_b32_e32 v52, v95
	v_add_f32_e32 v51, v42, v51
	v_fmac_f32_e32 v52, 0xbf06c442, v64
	v_mul_f32_e32 v96, 0x3f3d2fb0, v79
	v_add_f32_e32 v51, v52, v51
	v_mov_b32_e32 v52, v96
	v_fmac_f32_e32 v52, 0xbf2c7751, v66
	v_mul_f32_e32 v97, 0x3ee437d1, v83
	v_add_f32_e32 v51, v52, v51
	v_mov_b32_e32 v52, v97
	v_fmac_f32_e32 v52, 0x3f65296c, v68
	v_mul_f32_e32 v98, 0xbf7ba420, v86
	v_add_f32_e32 v51, v52, v51
	v_mov_b32_e32 v52, v98
	v_fmac_f32_e32 v52, 0x3e3c28d5, v72
	v_mul_f32_e32 v99, 0x3dbcf732, v88
	v_add_f32_e32 v51, v52, v51
	v_mov_b32_e32 v52, v99
	v_fmac_f32_e32 v52, 0xbf7ee86f, v76
	v_mul_f32_e32 v100, 0x3f6eb680, v90
	v_add_f32_e32 v51, v52, v51
	v_mov_b32_e32 v52, v100
	v_fmac_f32_e32 v52, 0x3eb8f4ab, v80
	v_mul_f32_e32 v93, 0xbf1a4643, v91
	v_add_f32_e32 v51, v52, v51
	v_mov_b32_e32 v52, v93
	v_fmac_f32_e32 v52, 0x3f4c4adb, v84
	v_mul_f32_e32 v101, 0xbf763a35, v69
	v_add_f32_e32 v52, v52, v51
	v_mov_b32_e32 v51, v101
	v_mul_f32_e32 v102, 0x3f06c442, v73
	v_fmac_f32_e32 v51, 0xbe8c1d8e, v61
	v_mov_b32_e32 v53, v102
	v_add_f32_e32 v51, v41, v51
	v_fmac_f32_e32 v53, 0xbf59a7d5, v63
	v_mul_f32_e32 v103, 0x3f2c7751, v77
	v_add_f32_e32 v51, v53, v51
	v_mov_b32_e32 v53, v103
	v_fmac_f32_e32 v53, 0x3f3d2fb0, v65
	v_mul_f32_e32 v104, 0xbf65296c, v81
	v_add_f32_e32 v51, v53, v51
	v_mov_b32_e32 v53, v104
	v_fmac_f32_e32 v53, 0x3ee437d1, v67
	v_mul_f32_e32 v105, 0xbe3c28d5, v85
	v_add_f32_e32 v51, v53, v51
	v_mov_b32_e32 v53, v105
	v_fmac_f32_e32 v53, 0xbf7ba420, v70
	v_mul_f32_e32 v106, 0x3f7ee86f, v87
	v_add_f32_e32 v51, v53, v51
	v_mov_b32_e32 v53, v106
	v_fmac_f32_e32 v53, 0x3dbcf732, v74
	v_mul_f32_e32 v107, 0xbeb8f4ab, v89
	v_add_f32_e32 v51, v53, v51
	v_mov_b32_e32 v53, v107
	v_fmac_f32_e32 v53, 0x3f6eb680, v78
	v_mul_f32_e32 v108, 0xbf4c4adb, v92
	v_add_f32_e32 v51, v53, v51
	v_mov_b32_e32 v53, v108
	v_fmac_f32_e32 v53, 0xbf1a4643, v82
	v_mul_f32_e32 v109, 0x3dbcf732, v71
	v_add_f32_e32 v51, v53, v51
	v_mov_b32_e32 v53, v109
	v_mul_f32_e32 v110, 0xbf7ba420, v75
	;; [unrolled: 32-line block ×3, first 2 shown]
	v_fmac_f32_e32 v53, 0x3dbcf732, v61
	v_mov_b32_e32 v119, v118
	v_add_f32_e32 v53, v41, v53
	v_fmac_f32_e32 v119, 0xbf7ba420, v63
	v_add_f32_e32 v53, v119, v53
	v_mul_f32_e32 v119, 0x3f763a35, v77
	v_mov_b32_e32 v120, v119
	v_fmac_f32_e32 v120, 0xbe8c1d8e, v65
	v_add_f32_e32 v53, v120, v53
	v_mul_f32_e32 v120, 0x3eb8f4ab, v81
	v_mov_b32_e32 v121, v120
	v_fmac_f32_e32 v121, 0x3f6eb680, v67
	v_add_f32_e32 v53, v121, v53
	v_mul_f32_e32 v121, 0xbf65296c, v85
	v_add_f32_e32 v32, v41, v32
	v_mov_b32_e32 v122, v121
	v_add_f32_e32 v33, v42, v33
	v_add_f32_e32 v32, v32, v34
	v_mul_f32_e32 v34, 0xbf06c442, v87
	v_fmac_f32_e32 v122, 0x3ee437d1, v70
	v_add_f32_e32 v33, v33, v35
	v_mov_b32_e32 v35, v34
	v_add_f32_e32 v53, v122, v53
	v_fmac_f32_e32 v35, 0xbf59a7d5, v74
	v_mul_f32_e32 v122, 0x3f4c4adb, v89
	v_add_f32_e32 v35, v35, v53
	v_mov_b32_e32 v53, v122
	v_fmac_f32_e32 v53, 0xbf1a4643, v78
	v_mul_f32_e32 v123, 0x3f2c7751, v92
	v_add_f32_e32 v35, v53, v35
	v_mov_b32_e32 v53, v123
	v_fmac_f32_e32 v53, 0x3f3d2fb0, v82
	v_add_f32_e32 v53, v53, v35
	v_mul_f32_e32 v35, 0x3ee437d1, v71
	v_add_f32_e32 v28, v32, v28
	v_mov_b32_e32 v124, v35
	v_add_f32_e32 v29, v33, v29
	v_add_f32_e32 v28, v28, v30
	v_mul_f32_e32 v30, 0xbf1a4643, v75
	v_fmac_f32_e32 v124, 0x3f65296c, v62
	v_add_f32_e32 v29, v29, v31
	v_mov_b32_e32 v31, v30
	v_mul_f32_e32 v32, 0xbf7ba420, v79
	v_add_f32_e32 v124, v42, v124
	v_fmac_f32_e32 v31, 0x3f4c4adb, v64
	v_mov_b32_e32 v33, v32
	v_add_f32_e32 v31, v31, v124
	v_fmac_f32_e32 v33, 0xbe3c28d5, v66
	v_add_f32_e32 v31, v33, v31
	v_mul_f32_e32 v33, 0xbe8c1d8e, v83
	v_mov_b32_e32 v124, v33
	v_fmac_f32_e32 v124, 0xbf763a35, v68
	v_add_f32_e32 v31, v124, v31
	v_mul_f32_e32 v124, 0x3f3d2fb0, v86
	v_add_f32_e32 v24, v28, v24
	v_mov_b32_e32 v125, v124
	v_add_f32_e32 v25, v29, v25
	v_add_f32_e32 v24, v24, v26
	v_mul_f32_e32 v26, 0x3f6eb680, v88
	v_fmac_f32_e32 v125, 0xbf2c7751, v72
	v_add_f32_e32 v25, v25, v27
	v_mov_b32_e32 v27, v26
	v_mul_f32_e32 v28, 0x3dbcf732, v90
	v_add_f32_e32 v31, v125, v31
	v_fmac_f32_e32 v27, 0x3eb8f4ab, v76
	v_mov_b32_e32 v29, v28
	v_add_f32_e32 v27, v27, v31
	v_fmac_f32_e32 v29, 0x3f7ee86f, v80
	v_add_f32_e32 v27, v29, v27
	v_mul_f32_e32 v29, 0xbf65296c, v69
	v_add_f32_e32 v20, v24, v20
	v_mov_b32_e32 v31, v29
	v_add_f32_e32 v21, v25, v21
	v_add_f32_e32 v20, v20, v22
	v_mul_f32_e32 v22, 0xbf4c4adb, v73
	v_fmac_f32_e32 v31, 0x3ee437d1, v61
	v_add_f32_e32 v21, v21, v23
	v_mov_b32_e32 v23, v22
	v_mul_f32_e32 v24, 0x3e3c28d5, v77
	v_add_f32_e32 v31, v41, v31
	v_fmac_f32_e32 v23, 0xbf1a4643, v63
	v_mov_b32_e32 v25, v24
	v_add_f32_e32 v23, v23, v31
	v_fmac_f32_e32 v25, 0xbf7ba420, v65
	v_add_f32_e32 v17, v21, v17
	v_add_f32_e32 v23, v25, v23
	v_mul_f32_e32 v25, 0x3f763a35, v81
	v_add_f32_e32 v19, v17, v19
	v_mov_b32_e32 v31, v25
	v_add_f32_e32 v16, v20, v16
	v_mul_f32_e32 v20, 0x3f2c7751, v85
	v_add_f32_e32 v13, v19, v13
	v_fmac_f32_e32 v31, 0xbe8c1d8e, v67
	v_add_f32_e32 v18, v16, v18
	v_mov_b32_e32 v16, v20
	v_mul_f32_e32 v21, 0xbeb8f4ab, v87
	v_add_f32_e32 v13, v13, v15
	v_add_f32_e32 v23, v31, v23
	v_fmac_f32_e32 v16, 0x3f3d2fb0, v70
	v_mov_b32_e32 v17, v21
	v_add_f32_e32 v12, v18, v12
	v_add_f32_e32 v9, v13, v9
	;; [unrolled: 1-line block ×3, first 2 shown]
	v_fmac_f32_e32 v17, 0x3f6eb680, v74
	v_mul_f32_e32 v23, 0xbf7ee86f, v89
	v_add_f32_e32 v12, v12, v14
	v_add_f32_e32 v9, v9, v11
	v_add_f32_e32 v16, v17, v16
	v_mov_b32_e32 v17, v23
	v_add_f32_e32 v8, v12, v8
	v_add_f32_e32 v5, v9, v5
	v_mul_f32_e32 v130, 0xbf2c7751, v69
	v_mul_f32_e32 v31, 0xbf59a7d5, v91
	v_fmac_f32_e32 v17, 0x3dbcf732, v78
	v_add_f32_e32 v8, v8, v10
	v_add_f32_e32 v5, v5, v7
	v_mov_b32_e32 v7, v130
	v_mul_f32_e32 v131, 0xbf7ee86f, v73
	v_add_f32_e32 v16, v17, v16
	v_mov_b32_e32 v17, v31
	v_add_f32_e32 v4, v8, v4
	v_fmac_f32_e32 v7, 0x3f3d2fb0, v61
	v_mov_b32_e32 v8, v131
	v_fmac_f32_e32 v17, 0x3f06c442, v84
	v_add_f32_e32 v7, v41, v7
	v_fmac_f32_e32 v8, 0x3dbcf732, v63
	v_mul_f32_e32 v132, 0xbf4c4adb, v77
	v_add_f32_e32 v17, v17, v27
	v_mul_f32_e32 v27, 0xbf06c442, v92
	v_mul_f32_e32 v18, 0x3f3d2fb0, v71
	v_add_f32_e32 v7, v8, v7
	v_mov_b32_e32 v8, v132
	v_mov_b32_e32 v125, v27
	;; [unrolled: 1-line block ×3, first 2 shown]
	v_mul_f32_e32 v19, 0x3dbcf732, v75
	v_fmac_f32_e32 v8, 0xbf1a4643, v65
	v_mul_f32_e32 v133, 0xbe3c28d5, v81
	v_fmac_f32_e32 v125, 0xbf59a7d5, v82
	v_fmac_f32_e32 v14, 0x3f2c7751, v62
	v_mov_b32_e32 v15, v19
	v_add_f32_e32 v7, v8, v7
	v_mov_b32_e32 v8, v133
	v_add_f32_e32 v16, v125, v16
	v_add_f32_e32 v14, v42, v14
	v_fmac_f32_e32 v15, 0x3f7ee86f, v64
	v_mul_f32_e32 v125, 0xbf1a4643, v79
	v_fmac_f32_e32 v8, 0xbf7ba420, v67
	v_mul_f32_e32 v134, 0x3f06c442, v85
	v_add_f32_e32 v14, v15, v14
	v_mov_b32_e32 v15, v125
	v_mul_f32_e32 v126, 0xbf7ba420, v83
	v_add_f32_e32 v7, v8, v7
	v_mov_b32_e32 v8, v134
	v_fmac_f32_e32 v15, 0x3f4c4adb, v66
	v_mov_b32_e32 v10, v126
	v_mul_f32_e32 v127, 0xbf59a7d5, v86
	v_fmac_f32_e32 v8, 0xbf59a7d5, v70
	v_mul_f32_e32 v135, 0x3f763a35, v87
	v_add_f32_e32 v14, v15, v14
	v_fmac_f32_e32 v10, 0x3e3c28d5, v68
	v_mov_b32_e32 v11, v127
	v_add_f32_e32 v7, v8, v7
	v_mov_b32_e32 v8, v135
	v_add_f32_e32 v10, v10, v14
	v_fmac_f32_e32 v11, 0xbf06c442, v72
	v_mul_f32_e32 v128, 0xbe8c1d8e, v88
	v_fmac_f32_e32 v8, 0xbe8c1d8e, v74
	v_mul_f32_e32 v136, 0x3f65296c, v89
	v_add_f32_e32 v10, v11, v10
	v_mov_b32_e32 v11, v128
	v_mul_f32_e32 v129, 0x3ee437d1, v90
	v_add_f32_e32 v7, v8, v7
	v_mov_b32_e32 v8, v136
	v_fmac_f32_e32 v11, 0xbf763a35, v76
	v_add_f32_e32 v4, v4, v6
	v_mov_b32_e32 v6, v129
	v_fmac_f32_e32 v8, 0x3ee437d1, v78
	v_mul_f32_e32 v137, 0x3f6eb680, v91
	v_add_f32_e32 v10, v11, v10
	v_fmac_f32_e32 v6, 0xbf65296c, v80
	v_add_f32_e32 v8, v8, v7
	v_mov_b32_e32 v7, v137
	v_add_f32_e32 v6, v6, v10
	v_fmac_f32_e32 v7, 0xbeb8f4ab, v84
	v_mul_f32_e32 v138, 0x3eb8f4ab, v92
	v_add_f32_e32 v7, v7, v6
	v_mov_b32_e32 v6, v138
	v_fmac_f32_e32 v6, 0x3f6eb680, v82
	v_mul_f32_e32 v71, 0x3f6eb680, v71
	v_add_f32_e32 v6, v6, v8
	v_mov_b32_e32 v8, v71
	v_mul_f32_e32 v75, 0x3f3d2fb0, v75
	v_fmac_f32_e32 v8, 0x3eb8f4ab, v62
	v_mov_b32_e32 v9, v75
	v_add_f32_e32 v8, v42, v8
	v_fmac_f32_e32 v9, 0x3f2c7751, v64
	v_mul_f32_e32 v79, 0x3ee437d1, v79
	v_add_f32_e32 v8, v9, v8
	v_mov_b32_e32 v9, v79
	v_fmac_f32_e32 v9, 0x3f65296c, v66
	v_mul_f32_e32 v83, 0x3dbcf732, v83
	v_add_f32_e32 v8, v9, v8
	v_mov_b32_e32 v9, v83
	;; [unrolled: 4-line block ×6, first 2 shown]
	v_mul_f32_e32 v73, 0xbf2c7751, v73
	v_fmac_f32_e32 v9, 0x3f6eb680, v61
	v_mov_b32_e32 v10, v73
	v_add_f32_e32 v9, v41, v9
	v_fmac_f32_e32 v10, 0x3f3d2fb0, v63
	v_mul_f32_e32 v77, 0xbf65296c, v77
	v_add_f32_e32 v9, v10, v9
	v_mov_b32_e32 v10, v77
	v_fmac_f32_e32 v10, 0x3ee437d1, v65
	v_mul_f32_e32 v81, 0xbf7ee86f, v81
	v_add_f32_e32 v9, v10, v9
	v_mov_b32_e32 v10, v81
	;; [unrolled: 4-line block ×7, first 2 shown]
	v_fmac_f32_e32 v8, 0xbf7ba420, v82
	v_fmac_f32_e32 v94, 0xbf763a35, v62
	v_add_f32_e32 v8, v8, v10
	v_add_f32_e32 v10, v42, v94
	v_fmac_f32_e32 v95, 0x3f06c442, v64
	v_add_f32_e32 v10, v95, v10
	v_fmac_f32_e32 v96, 0x3f2c7751, v66
	v_add_f32_e32 v10, v96, v10
	v_fmac_f32_e32 v97, 0xbf65296c, v68
	v_add_f32_e32 v10, v97, v10
	v_fmac_f32_e32 v98, 0xbe3c28d5, v72
	v_add_f32_e32 v10, v98, v10
	v_fmac_f32_e32 v99, 0x3f7ee86f, v76
	v_fma_f32 v11, v61, s9, -v101
	v_add_f32_e32 v10, v99, v10
	v_fmac_f32_e32 v100, 0xbeb8f4ab, v80
	v_add_f32_e32 v11, v41, v11
	v_fma_f32 v12, v63, s7, -v102
	v_add_f32_e32 v10, v100, v10
	v_add_f32_e32 v11, v12, v11
	v_fma_f32 v12, v65, s17, -v103
	v_fmac_f32_e32 v93, 0xbf4c4adb, v84
	v_add_f32_e32 v12, v12, v11
	v_add_f32_e32 v11, v93, v10
	v_fma_f32 v10, v67, s14, -v104
	v_add_f32_e32 v10, v10, v12
	v_fma_f32 v12, v70, s8, -v105
	;; [unrolled: 2-line block ×5, first 2 shown]
	v_fmac_f32_e32 v109, 0xbf7ee86f, v62
	v_add_f32_e32 v10, v12, v10
	v_add_f32_e32 v12, v42, v109
	v_fmac_f32_e32 v110, 0xbe3c28d5, v64
	v_add_f32_e32 v12, v110, v12
	v_fmac_f32_e32 v111, 0x3f763a35, v66
	v_add_f32_e32 v12, v111, v12
	v_fmac_f32_e32 v112, 0x3eb8f4ab, v68
	v_add_f32_e32 v12, v112, v12
	v_fmac_f32_e32 v113, 0xbf65296c, v72
	v_add_f32_e32 v12, v113, v12
	v_fmac_f32_e32 v114, 0xbf06c442, v76
	v_add_f32_e32 v12, v114, v12
	v_fmac_f32_e32 v115, 0x3f4c4adb, v80
	v_add_f32_e32 v12, v115, v12
	v_fmac_f32_e32 v116, 0x3f2c7751, v84
	v_add_f32_e32 v13, v116, v12
	v_fma_f32 v12, v61, s16, -v117
	v_add_f32_e32 v12, v41, v12
	v_fma_f32 v14, v63, s8, -v118
	;; [unrolled: 2-line block ×8, first 2 shown]
	v_fmac_f32_e32 v35, 0xbf65296c, v62
	v_add_f32_e32 v12, v14, v12
	v_add_f32_e32 v14, v42, v35
	v_fmac_f32_e32 v30, 0xbf4c4adb, v64
	v_add_f32_e32 v14, v30, v14
	v_fmac_f32_e32 v32, 0x3e3c28d5, v66
	;; [unrolled: 2-line block ×7, first 2 shown]
	v_fmac_f32_e32 v18, 0xbf2c7751, v62
	v_add_f32_e32 v15, v31, v14
	v_fma_f32 v14, v61, s14, -v29
	v_add_f32_e32 v18, v42, v18
	v_fmac_f32_e32 v19, 0xbf7ee86f, v64
	v_add_f32_e32 v14, v41, v14
	v_fma_f32 v22, v63, s6, -v22
	v_add_f32_e32 v18, v19, v18
	;; [unrolled: 4-line block ×8, first 2 shown]
	v_fma_f32 v18, v61, s17, -v130
	v_add_f32_e32 v14, v20, v14
	v_add_f32_e32 v18, v41, v18
	v_fma_f32 v20, v63, s16, -v131
	v_add_f32_e32 v18, v20, v18
	v_fma_f32 v20, v65, s6, -v132
	;; [unrolled: 2-line block ×7, first 2 shown]
	v_fmac_f32_e32 v71, 0xbeb8f4ab, v62
	v_add_f32_e32 v18, v20, v18
	v_add_f32_e32 v20, v42, v71
	v_fmac_f32_e32 v75, 0xbf2c7751, v64
	v_add_f32_e32 v20, v75, v20
	v_fmac_f32_e32 v79, 0xbf65296c, v66
	;; [unrolled: 2-line block ×7, first 2 shown]
	v_add_f32_e32 v21, v91, v20
	v_fma_f32 v20, v61, s15, -v69
	v_add_f32_e32 v20, v41, v20
	v_fma_f32 v22, v63, s17, -v73
	;; [unrolled: 2-line block ×8, first 2 shown]
	v_add_f32_e32 v20, v22, v20
	v_mul_u32_u24_e32 v22, 0x88, v40
	v_add3_u32 v22, 0, v22, v58
	ds_write2_b64 v22, v[4:5], v[8:9] offset1:1
	ds_write2_b64 v22, v[6:7], v[16:17] offset0:2 offset1:3
	ds_write2_b64 v22, v[53:54], v[51:52] offset0:4 offset1:5
	;; [unrolled: 1-line block ×7, first 2 shown]
	ds_write_b64 v22, v[20:21] offset:128
.LBB0_22:
	s_or_b64 exec, exec, s[4:5]
	s_waitcnt lgkmcnt(0)
	s_barrier
	ds_read2_b64 v[4:7], v56 offset0:68 offset1:187
	ds_read2_b64 v[8:11], v59 offset0:127 offset1:246
	;; [unrolled: 1-line block ×3, first 2 shown]
	ds_read_b64 v[16:17], v57
	ds_read_b64 v[18:19], v56 offset:5032
	v_cmp_gt_u32_e32 vcc, 51, v40
	s_and_saveexec_b64 s[4:5], vcc
	s_cbranch_execz .LBB0_24
; %bb.23:
	v_add_u32_e32 v0, 0x400, v56
	v_add_u32_e32 v20, 0xc00, v56
	ds_read2_b64 v[0:3], v0 offset0:8 offset1:195
	ds_read2_b32 v[45:46], v20 offset0:252 offset1:253
	ds_read_b64 v[43:44], v56 offset:5576
.LBB0_24:
	s_or_b64 exec, exec, s[4:5]
	s_movk_i32 s6, 0xf1
	v_mul_lo_u16_sdwa v20, v40, s6 dst_sel:DWORD dst_unused:UNUSED_PAD src0_sel:BYTE_0 src1_sel:DWORD
	v_lshrrev_b16_e32 v33, 12, v20
	v_mul_lo_u16_e32 v20, 17, v33
	v_sub_u16_e32 v34, v40, v20
	v_mov_b32_e32 v20, 3
	v_mul_u32_u24_sdwa v21, v34, v20 dst_sel:DWORD dst_unused:UNUSED_PAD src0_sel:BYTE_0 src1_sel:DWORD
	v_lshlrev_b32_e32 v25, 3, v21
	global_load_dwordx2 v[29:30], v25, s[12:13] offset:16
	global_load_dwordx4 v[21:24], v25, s[12:13]
	v_add_u16_e32 v25, 0x44, v40
	v_mul_lo_u16_sdwa v26, v25, s6 dst_sel:DWORD dst_unused:UNUSED_PAD src0_sel:BYTE_0 src1_sel:DWORD
	v_lshrrev_b16_e32 v35, 12, v26
	v_mul_lo_u16_e32 v26, 17, v35
	v_sub_u16_e32 v41, v25, v26
	v_mul_u32_u24_sdwa v25, v41, v20 dst_sel:DWORD dst_unused:UNUSED_PAD src0_sel:BYTE_0 src1_sel:DWORD
	v_lshlrev_b32_e32 v42, 3, v25
	global_load_dwordx4 v[25:28], v42, s[12:13]
	global_load_dwordx2 v[31:32], v42, s[12:13] offset:16
	s_movk_i32 s7, 0x220
	v_mad_u32_u24 v33, v33, s7, 0
	v_mad_u32_u24 v35, v35, s7, 0
	v_lshlrev_b32_sdwa v34, v20, v34 dst_sel:DWORD dst_unused:UNUSED_PAD src0_sel:DWORD src1_sel:BYTE_0
	v_lshlrev_b32_sdwa v41, v20, v41 dst_sel:DWORD dst_unused:UNUSED_PAD src0_sel:DWORD src1_sel:BYTE_0
	v_add3_u32 v33, v33, v34, v58
	v_add3_u32 v34, v35, v41, v58
	s_waitcnt vmcnt(0) lgkmcnt(0)
	s_barrier
	v_mul_f32_e32 v42, v30, v15
	v_mul_f32_e32 v35, v22, v7
	;; [unrolled: 1-line block ×6, first 2 shown]
	v_fmac_f32_e32 v35, v21, v6
	v_fma_f32 v6, v21, v7, -v22
	v_mul_f32_e32 v47, v26, v9
	v_mul_f32_e32 v26, v26, v8
	;; [unrolled: 1-line block ×6, first 2 shown]
	v_fmac_f32_e32 v41, v23, v10
	v_fma_f32 v7, v23, v11, -v24
	v_fmac_f32_e32 v42, v29, v14
	v_fma_f32 v10, v29, v15, -v30
	;; [unrolled: 2-line block ×5, first 2 shown]
	v_sub_f32_e32 v12, v16, v41
	v_sub_f32_e32 v13, v17, v7
	;; [unrolled: 1-line block ×8, first 2 shown]
	v_fma_f32 v16, v16, 2.0, -v12
	v_fma_f32 v17, v17, 2.0, -v13
	;; [unrolled: 1-line block ×4, first 2 shown]
	v_add_f32_e32 v6, v12, v10
	v_sub_f32_e32 v7, v13, v7
	v_fma_f32 v21, v4, 2.0, -v14
	v_fma_f32 v22, v5, 2.0, -v15
	;; [unrolled: 1-line block ×4, first 2 shown]
	v_add_f32_e32 v4, v14, v11
	v_sub_f32_e32 v5, v15, v9
	v_sub_f32_e32 v8, v16, v18
	;; [unrolled: 1-line block ×3, first 2 shown]
	v_fma_f32 v10, v12, 2.0, -v6
	v_fma_f32 v11, v13, 2.0, -v7
	v_sub_f32_e32 v12, v21, v23
	v_sub_f32_e32 v13, v22, v24
	v_fma_f32 v14, v14, 2.0, -v4
	v_fma_f32 v15, v15, 2.0, -v5
	;; [unrolled: 1-line block ×6, first 2 shown]
	ds_write2_b64 v33, v[8:9], v[6:7] offset0:34 offset1:51
	ds_write2_b64 v33, v[16:17], v[10:11] offset1:17
	ds_write2_b64 v34, v[18:19], v[14:15] offset1:17
	ds_write2_b64 v34, v[12:13], v[4:5] offset0:34 offset1:51
	s_and_saveexec_b64 s[4:5], vcc
	s_cbranch_execz .LBB0_26
; %bb.25:
	v_add_u16_e32 v4, 0x88, v40
	v_mul_lo_u16_sdwa v5, v4, s6 dst_sel:DWORD dst_unused:UNUSED_PAD src0_sel:BYTE_0 src1_sel:DWORD
	v_lshrrev_b16_e32 v10, 12, v5
	v_mul_lo_u16_e32 v5, 17, v10
	v_sub_u16_e32 v11, v4, v5
	v_mul_u32_u24_sdwa v4, v11, v20 dst_sel:DWORD dst_unused:UNUSED_PAD src0_sel:BYTE_0 src1_sel:DWORD
	v_lshlrev_b32_e32 v12, 3, v4
	global_load_dwordx4 v[4:7], v12, s[12:13]
	global_load_dwordx2 v[8:9], v12, s[12:13] offset:16
	v_mad_u32_u24 v10, v10, s7, 0
	v_lshlrev_b32_sdwa v11, v20, v11 dst_sel:DWORD dst_unused:UNUSED_PAD src0_sel:DWORD src1_sel:BYTE_0
	v_add3_u32 v10, v10, v11, v58
	s_waitcnt vmcnt(1)
	v_mul_f32_e32 v11, v45, v7
	v_mul_f32_e32 v12, v3, v5
	s_waitcnt vmcnt(0)
	v_mul_f32_e32 v13, v44, v9
	v_mul_f32_e32 v7, v46, v7
	;; [unrolled: 1-line block ×4, first 2 shown]
	v_fma_f32 v11, v46, v6, -v11
	v_fmac_f32_e32 v12, v2, v4
	v_fmac_f32_e32 v13, v43, v8
	;; [unrolled: 1-line block ×3, first 2 shown]
	v_fma_f32 v4, v3, v4, -v5
	v_fma_f32 v2, v44, v8, -v9
	v_sub_f32_e32 v5, v1, v11
	v_sub_f32_e32 v6, v12, v13
	;; [unrolled: 1-line block ×5, first 2 shown]
	v_add_f32_e32 v2, v7, v8
	v_fma_f32 v9, v1, 2.0, -v5
	v_fma_f32 v4, v4, 2.0, -v8
	;; [unrolled: 1-line block ×5, first 2 shown]
	v_sub_f32_e32 v5, v9, v4
	v_sub_f32_e32 v4, v8, v6
	v_fma_f32 v0, v7, 2.0, -v2
	v_fma_f32 v7, v9, 2.0, -v5
	;; [unrolled: 1-line block ×3, first 2 shown]
	ds_write2_b64 v10, v[6:7], v[0:1] offset1:17
	ds_write2_b64 v10, v[4:5], v[2:3] offset0:34 offset1:51
.LBB0_26:
	s_or_b64 exec, exec, s[4:5]
	v_mul_u32_u24_e32 v0, 10, v40
	v_lshlrev_b32_e32 v20, 3, v0
	s_waitcnt lgkmcnt(0)
	s_barrier
	global_load_dwordx4 v[0:3], v20, s[12:13] offset:408
	global_load_dwordx4 v[4:7], v20, s[12:13] offset:424
	global_load_dwordx4 v[8:11], v20, s[12:13] offset:440
	global_load_dwordx4 v[12:15], v20, s[12:13] offset:456
	global_load_dwordx4 v[16:19], v20, s[12:13] offset:472
	ds_read2_b64 v[20:23], v56 offset0:68 offset1:136
	v_add_u32_e32 v24, 0x400, v56
	ds_read_b64 v[41:42], v57
	ds_read_b64 v[43:44], v56 offset:5440
	v_add_u32_e32 v47, 0x800, v56
	v_add_u32_e32 v48, 0x1000, v56
	ds_read2_b64 v[24:27], v24 offset0:76 offset1:144
	ds_read2_b32 v[45:46], v47 offset0:168 offset1:169
	ds_read2_b64 v[28:31], v47 offset0:152 offset1:220
	ds_read2_b64 v[32:35], v48 offset0:32 offset1:100
	s_mov_b32 s4, 0x3f575c64
	s_mov_b32 s5, 0x3ed4b147
	;; [unrolled: 1-line block ×5, first 2 shown]
	s_waitcnt vmcnt(0) lgkmcnt(0)
	s_barrier
	v_mul_f32_e32 v49, v1, v21
	v_mul_f32_e32 v1, v1, v20
	;; [unrolled: 1-line block ×12, first 2 shown]
	v_fmac_f32_e32 v49, v0, v20
	v_fma_f32 v0, v0, v21, -v1
	v_mul_f32_e32 v53, v46, v9
	v_mul_f32_e32 v9, v9, v45
	;; [unrolled: 1-line block ×6, first 2 shown]
	v_fmac_f32_e32 v50, v2, v22
	v_fma_f32 v2, v2, v23, -v3
	v_fmac_f32_e32 v51, v4, v24
	v_fma_f32 v3, v4, v25, -v5
	;; [unrolled: 2-line block ×4, first 2 shown]
	v_fma_f32 v1, v44, v18, -v19
	v_add_f32_e32 v10, v49, v41
	v_add_f32_e32 v11, v0, v42
	v_fmac_f32_e32 v53, v8, v45
	v_fma_f32 v5, v46, v8, -v9
	v_fma_f32 v7, v31, v12, -v13
	;; [unrolled: 1-line block ×3, first 2 shown]
	v_add_f32_e32 v13, v0, v1
	v_sub_f32_e32 v15, v0, v1
	v_add_f32_e32 v0, v10, v50
	v_add_f32_e32 v10, v11, v2
	;; [unrolled: 1-line block ×6, first 2 shown]
	v_mul_f32_e32 v59, v35, v17
	v_mul_f32_e32 v17, v34, v17
	v_fmac_f32_e32 v60, v43, v18
	v_add_f32_e32 v10, v10, v7
	v_fmac_f32_e32 v57, v30, v12
	v_fmac_f32_e32 v58, v32, v14
	;; [unrolled: 1-line block ×3, first 2 shown]
	v_fma_f32 v9, v35, v16, -v17
	v_add_f32_e32 v12, v49, v60
	v_sub_f32_e32 v14, v49, v60
	v_mul_f32_e32 v11, 0xbf0a6770, v15
	v_mul_f32_e32 v16, 0x3f575c64, v13
	v_add_f32_e32 v10, v10, v8
	v_mov_b32_e32 v17, v11
	v_mov_b32_e32 v18, v16
	v_fma_f32 v11, v12, s4, -v11
	v_add_f32_e32 v10, v10, v9
	v_fmac_f32_e32 v16, 0xbf0a6770, v14
	v_add_f32_e32 v1, v10, v1
	v_add_f32_e32 v10, v11, v41
	;; [unrolled: 1-line block ×3, first 2 shown]
	v_mul_f32_e32 v16, 0xbf68dda4, v15
	v_mul_f32_e32 v22, 0xbf7d64f0, v15
	;; [unrolled: 1-line block ×4, first 2 shown]
	v_mov_b32_e32 v19, v16
	v_mov_b32_e32 v23, v22
	;; [unrolled: 1-line block ×4, first 2 shown]
	v_fmac_f32_e32 v17, 0x3f575c64, v12
	v_fmac_f32_e32 v19, 0x3ed4b147, v12
	v_mul_f32_e32 v20, 0x3ed4b147, v13
	v_fma_f32 v16, v12, s5, -v16
	v_fmac_f32_e32 v23, 0xbe11bafb, v12
	v_mul_f32_e32 v24, 0xbe11bafb, v13
	v_fma_f32 v22, v12, s6, -v22
	v_fmac_f32_e32 v27, 0xbf27a4f4, v12
	v_mul_f32_e32 v28, 0xbf27a4f4, v13
	v_fma_f32 v26, v12, s7, -v26
	v_fmac_f32_e32 v30, 0xbf75a155, v12
	v_mul_f32_e32 v13, 0xbf75a155, v13
	v_fma_f32 v12, v12, s8, -v15
	v_add_f32_e32 v15, v2, v9
	v_sub_f32_e32 v2, v2, v9
	v_mov_b32_e32 v21, v20
	v_mov_b32_e32 v25, v24
	;; [unrolled: 1-line block ×4, first 2 shown]
	v_mul_f32_e32 v9, 0xbf68dda4, v2
	v_fmac_f32_e32 v18, 0x3f0a6770, v14
	v_fmac_f32_e32 v21, 0x3f68dda4, v14
	;; [unrolled: 1-line block ×9, first 2 shown]
	v_add_f32_e32 v14, v50, v59
	v_mov_b32_e32 v33, v9
	v_add_f32_e32 v17, v17, v41
	v_fmac_f32_e32 v33, 0x3ed4b147, v14
	v_sub_f32_e32 v32, v50, v59
	v_add_f32_e32 v17, v33, v17
	v_mul_f32_e32 v33, 0x3ed4b147, v15
	v_mov_b32_e32 v34, v33
	v_fma_f32 v9, v14, s5, -v9
	v_fmac_f32_e32 v33, 0xbf68dda4, v32
	v_add_f32_e32 v9, v9, v10
	v_add_f32_e32 v10, v33, v11
	v_mul_f32_e32 v11, 0xbf4178ce, v2
	v_mov_b32_e32 v33, v11
	v_add_f32_e32 v19, v19, v41
	v_fmac_f32_e32 v33, 0xbf27a4f4, v14
	v_add_f32_e32 v18, v18, v42
	v_fmac_f32_e32 v34, 0x3f68dda4, v32
	v_add_f32_e32 v19, v33, v19
	v_mul_f32_e32 v33, 0xbf27a4f4, v15
	v_add_f32_e32 v16, v16, v41
	v_add_f32_e32 v20, v20, v42
	v_add_f32_e32 v18, v34, v18
	v_mov_b32_e32 v34, v33
	v_fma_f32 v11, v14, s7, -v11
	v_fmac_f32_e32 v33, 0xbf4178ce, v32
	v_add_f32_e32 v11, v11, v16
	v_add_f32_e32 v16, v33, v20
	v_mul_f32_e32 v20, 0x3e903f40, v2
	v_mov_b32_e32 v33, v20
	v_add_f32_e32 v23, v23, v41
	v_fmac_f32_e32 v33, 0xbf75a155, v14
	v_add_f32_e32 v21, v21, v42
	v_fmac_f32_e32 v34, 0x3f4178ce, v32
	v_add_f32_e32 v23, v33, v23
	v_mul_f32_e32 v33, 0xbf75a155, v15
	v_add_f32_e32 v22, v22, v41
	v_add_f32_e32 v24, v24, v42
	v_add_f32_e32 v21, v34, v21
	;; [unrolled: 16-line block ×3, first 2 shown]
	v_mov_b32_e32 v34, v33
	v_fma_f32 v24, v14, s6, -v24
	v_fmac_f32_e32 v33, 0x3f7d64f0, v32
	v_mul_f32_e32 v2, 0x3f0a6770, v2
	v_add_f32_e32 v24, v24, v26
	v_add_f32_e32 v26, v33, v28
	v_mov_b32_e32 v28, v2
	v_add_f32_e32 v30, v30, v41
	v_fmac_f32_e32 v28, 0x3f575c64, v14
	v_mul_f32_e32 v15, 0x3f575c64, v15
	v_add_f32_e32 v28, v28, v30
	v_mov_b32_e32 v30, v15
	v_fma_f32 v2, v14, s4, -v2
	v_add_f32_e32 v14, v3, v8
	v_sub_f32_e32 v3, v3, v8
	v_add_f32_e32 v31, v31, v42
	v_add_f32_e32 v12, v12, v41
	;; [unrolled: 1-line block ×3, first 2 shown]
	v_fmac_f32_e32 v30, 0xbf0a6770, v32
	v_fmac_f32_e32 v15, 0x3f0a6770, v32
	v_mul_f32_e32 v8, 0xbf7d64f0, v3
	v_add_f32_e32 v30, v30, v31
	v_add_f32_e32 v2, v2, v12
	;; [unrolled: 1-line block ×4, first 2 shown]
	v_mov_b32_e32 v31, v8
	v_fmac_f32_e32 v31, 0xbe11bafb, v13
	v_sub_f32_e32 v15, v51, v58
	v_add_f32_e32 v17, v31, v17
	v_mul_f32_e32 v31, 0xbe11bafb, v14
	v_fmac_f32_e32 v34, 0xbf7d64f0, v32
	v_mov_b32_e32 v32, v31
	v_fma_f32 v8, v13, s6, -v8
	v_fmac_f32_e32 v31, 0xbf7d64f0, v15
	v_add_f32_e32 v8, v8, v9
	v_add_f32_e32 v9, v31, v10
	v_mul_f32_e32 v10, 0x3e903f40, v3
	v_mov_b32_e32 v31, v10
	v_fmac_f32_e32 v31, 0xbf75a155, v13
	v_fmac_f32_e32 v32, 0x3f7d64f0, v15
	v_add_f32_e32 v19, v31, v19
	v_mul_f32_e32 v31, 0xbf75a155, v14
	v_add_f32_e32 v18, v32, v18
	v_mov_b32_e32 v32, v31
	v_fma_f32 v10, v13, s8, -v10
	v_fmac_f32_e32 v31, 0x3e903f40, v15
	v_add_f32_e32 v10, v10, v11
	v_add_f32_e32 v11, v31, v16
	v_mul_f32_e32 v16, 0x3f68dda4, v3
	v_mov_b32_e32 v31, v16
	v_fmac_f32_e32 v31, 0x3ed4b147, v13
	v_fmac_f32_e32 v32, 0xbe903f40, v15
	v_add_f32_e32 v23, v31, v23
	v_mul_f32_e32 v31, 0x3ed4b147, v14
	v_add_f32_e32 v21, v32, v21
	;; [unrolled: 12-line block ×3, first 2 shown]
	v_mov_b32_e32 v32, v31
	v_fma_f32 v22, v13, s4, -v22
	v_fmac_f32_e32 v31, 0xbf0a6770, v15
	v_mul_f32_e32 v3, 0xbf4178ce, v3
	v_add_f32_e32 v22, v22, v24
	v_add_f32_e32 v24, v31, v26
	v_mov_b32_e32 v26, v3
	v_fmac_f32_e32 v26, 0xbf27a4f4, v13
	v_mul_f32_e32 v14, 0xbf27a4f4, v14
	v_fma_f32 v3, v13, s7, -v3
	v_add_f32_e32 v13, v4, v7
	v_sub_f32_e32 v4, v4, v7
	v_add_f32_e32 v26, v26, v28
	v_mov_b32_e32 v28, v14
	v_fmac_f32_e32 v14, 0xbf4178ce, v15
	v_mul_f32_e32 v7, 0xbf4178ce, v4
	v_fmac_f32_e32 v32, 0x3f0a6770, v15
	v_fmac_f32_e32 v28, 0x3f4178ce, v15
	v_add_f32_e32 v2, v3, v2
	v_add_f32_e32 v3, v14, v12
	;; [unrolled: 1-line block ×3, first 2 shown]
	v_mov_b32_e32 v15, v7
	v_fmac_f32_e32 v15, 0xbf27a4f4, v12
	v_sub_f32_e32 v14, v52, v57
	v_add_f32_e32 v15, v15, v17
	v_mul_f32_e32 v17, 0xbf27a4f4, v13
	v_add_f32_e32 v28, v28, v30
	v_mov_b32_e32 v30, v17
	v_fma_f32 v7, v12, s7, -v7
	v_fmac_f32_e32 v17, 0xbf4178ce, v14
	v_add_f32_e32 v7, v7, v8
	v_add_f32_e32 v8, v17, v9
	v_mul_f32_e32 v9, 0x3f7d64f0, v4
	v_mov_b32_e32 v17, v9
	v_fmac_f32_e32 v17, 0xbe11bafb, v12
	v_fmac_f32_e32 v30, 0x3f4178ce, v14
	v_add_f32_e32 v17, v17, v19
	v_mul_f32_e32 v19, 0xbe11bafb, v13
	v_add_f32_e32 v18, v30, v18
	v_mov_b32_e32 v30, v19
	v_fma_f32 v9, v12, s6, -v9
	v_fmac_f32_e32 v19, 0x3f7d64f0, v14
	v_add_f32_e32 v9, v9, v10
	v_add_f32_e32 v10, v19, v11
	v_mul_f32_e32 v11, 0xbf0a6770, v4
	v_mov_b32_e32 v19, v11
	v_fmac_f32_e32 v19, 0x3f575c64, v12
	v_fmac_f32_e32 v30, 0xbf7d64f0, v14
	v_add_f32_e32 v19, v19, v23
	v_mul_f32_e32 v23, 0x3f575c64, v13
	v_fma_f32 v11, v12, s4, -v11
	v_add_f32_e32 v21, v30, v21
	v_mov_b32_e32 v30, v23
	v_add_f32_e32 v16, v11, v16
	v_fmac_f32_e32 v23, 0xbf0a6770, v14
	v_mul_f32_e32 v11, 0xbe903f40, v4
	v_add_f32_e32 v20, v23, v20
	v_mov_b32_e32 v23, v11
	v_fma_f32 v11, v12, s8, -v11
	v_mul_f32_e32 v4, 0x3f68dda4, v4
	v_add_f32_e32 v22, v11, v22
	v_mov_b32_e32 v11, v4
	v_add_f32_e32 v29, v29, v42
	v_fmac_f32_e32 v23, 0xbf75a155, v12
	v_fmac_f32_e32 v11, 0x3ed4b147, v12
	v_add_f32_e32 v29, v34, v29
	v_fmac_f32_e32 v30, 0x3f0a6770, v14
	v_add_f32_e32 v23, v23, v27
	v_mul_f32_e32 v27, 0xbf75a155, v13
	v_add_f32_e32 v26, v11, v26
	v_mul_f32_e32 v11, 0x3ed4b147, v13
	v_add_f32_e32 v29, v32, v29
	v_add_f32_e32 v25, v30, v25
	v_mov_b32_e32 v30, v27
	v_mov_b32_e32 v13, v11
	v_add_f32_e32 v32, v5, v6
	v_add_f32_e32 v0, v0, v51
	v_fmac_f32_e32 v30, 0x3e903f40, v14
	v_fmac_f32_e32 v27, 0xbe903f40, v14
	v_fmac_f32_e32 v13, 0xbf68dda4, v14
	v_fma_f32 v4, v12, s5, -v4
	v_fmac_f32_e32 v11, 0x3f68dda4, v14
	v_sub_f32_e32 v33, v53, v54
	v_sub_f32_e32 v34, v5, v6
	v_mul_f32_e32 v5, 0xbf75a155, v32
	v_add_f32_e32 v0, v0, v52
	v_add_f32_e32 v29, v30, v29
	;; [unrolled: 1-line block ×7, first 2 shown]
	v_mul_f32_e32 v4, 0xbe903f40, v34
	v_mov_b32_e32 v3, v5
	v_fmac_f32_e32 v5, 0xbe903f40, v33
	v_add_f32_e32 v0, v0, v53
	v_mov_b32_e32 v2, v4
	v_fma_f32 v4, v31, s8, -v4
	v_add_f32_e32 v5, v5, v8
	v_mul_f32_e32 v8, 0x3f0a6770, v34
	v_mul_f32_e32 v11, 0x3f575c64, v32
	v_add_f32_e32 v0, v0, v54
	v_add_f32_e32 v4, v4, v7
	v_mov_b32_e32 v6, v8
	v_mov_b32_e32 v7, v11
	v_fma_f32 v8, v31, s4, -v8
	v_fmac_f32_e32 v11, 0x3f0a6770, v33
	v_mul_f32_e32 v12, 0xbf4178ce, v34
	v_mul_f32_e32 v13, 0xbf27a4f4, v32
	v_add_f32_e32 v0, v0, v57
	v_fmac_f32_e32 v6, 0x3f575c64, v31
	v_fmac_f32_e32 v7, 0xbf0a6770, v33
	v_add_f32_e32 v8, v8, v9
	v_add_f32_e32 v9, v11, v10
	v_mov_b32_e32 v10, v12
	v_mov_b32_e32 v11, v13
	v_fma_f32 v12, v31, s7, -v12
	v_fmac_f32_e32 v13, 0xbf4178ce, v33
	v_add_f32_e32 v0, v0, v58
	v_fmac_f32_e32 v2, 0xbf75a155, v31
	v_fmac_f32_e32 v3, 0x3e903f40, v33
	v_add_f32_e32 v6, v6, v17
	v_add_f32_e32 v7, v7, v21
	v_fmac_f32_e32 v10, 0xbf27a4f4, v31
	v_add_f32_e32 v12, v12, v16
	v_add_f32_e32 v13, v13, v20
	v_mul_f32_e32 v16, 0x3f68dda4, v34
	v_mul_f32_e32 v17, 0x3ed4b147, v32
	;; [unrolled: 1-line block ×4, first 2 shown]
	v_add_f32_e32 v0, v0, v59
	v_add_f32_e32 v2, v2, v15
	v_add_f32_e32 v3, v3, v18
	v_add_f32_e32 v10, v10, v19
	v_mov_b32_e32 v14, v16
	v_mov_b32_e32 v15, v17
	;; [unrolled: 1-line block ×4, first 2 shown]
	v_add_f32_e32 v0, v0, v60
	v_fmac_f32_e32 v11, 0x3f4178ce, v33
	v_fmac_f32_e32 v14, 0x3ed4b147, v31
	;; [unrolled: 1-line block ×3, first 2 shown]
	v_fma_f32 v16, v31, s5, -v16
	v_fmac_f32_e32 v17, 0x3f68dda4, v33
	v_fmac_f32_e32 v18, 0xbe11bafb, v31
	;; [unrolled: 1-line block ×3, first 2 shown]
	v_fma_f32 v20, v31, s6, -v20
	v_fmac_f32_e32 v21, 0xbf7d64f0, v33
	v_add_f32_e32 v11, v11, v25
	v_add_f32_e32 v14, v14, v23
	;; [unrolled: 1-line block ×9, first 2 shown]
	ds_write2_b64 v56, v[0:1], v[2:3] offset1:68
	ds_write2_b64 v56, v[6:7], v[10:11] offset0:136 offset1:204
	ds_write2_b64 v47, v[14:15], v[18:19] offset0:16 offset1:84
	;; [unrolled: 1-line block ×4, first 2 shown]
	ds_write_b64 v56, v[4:5] offset:5440
	s_waitcnt lgkmcnt(0)
	s_barrier
	s_and_saveexec_b64 s[4:5], s[0:1]
	s_cbranch_execz .LBB0_28
; %bb.27:
	v_mul_lo_u32 v0, s3, v38
	v_mul_lo_u32 v1, s2, v39
	v_mad_u64_u32 v[4:5], s[0:1], s2, v38, 0
	v_mov_b32_e32 v7, s11
	v_lshl_add_u32 v6, v40, 3, v55
	v_add3_u32 v5, v5, v1, v0
	v_lshlrev_b64 v[4:5], 3, v[4:5]
	v_mov_b32_e32 v41, 0
	v_add_co_u32_e32 v8, vcc, s10, v4
	v_addc_co_u32_e32 v7, vcc, v7, v5, vcc
	v_lshlrev_b64 v[4:5], 3, v[36:37]
	ds_read2_b64 v[0:3], v6 offset1:68
	v_add_co_u32_e32 v8, vcc, v8, v4
	v_addc_co_u32_e32 v7, vcc, v7, v5, vcc
	v_lshlrev_b64 v[4:5], 3, v[40:41]
	v_add_u32_e32 v9, 0x800, v6
	v_add_co_u32_e32 v4, vcc, v8, v4
	v_addc_co_u32_e32 v5, vcc, v7, v5, vcc
	s_waitcnt lgkmcnt(0)
	global_store_dwordx2 v[4:5], v[0:1], off
	v_add_u32_e32 v0, 0x44, v40
	v_mov_b32_e32 v1, v41
	v_lshlrev_b64 v[0:1], 3, v[0:1]
	v_add_u32_e32 v4, 0x88, v40
	v_add_co_u32_e32 v0, vcc, v8, v0
	v_addc_co_u32_e32 v1, vcc, v7, v1, vcc
	global_store_dwordx2 v[0:1], v[2:3], off
	v_mov_b32_e32 v5, v41
	ds_read2_b64 v[0:3], v6 offset0:136 offset1:204
	v_lshlrev_b64 v[4:5], 3, v[4:5]
	v_add_co_u32_e32 v4, vcc, v8, v4
	v_addc_co_u32_e32 v5, vcc, v7, v5, vcc
	s_waitcnt lgkmcnt(0)
	global_store_dwordx2 v[4:5], v[0:1], off
	v_add_u32_e32 v0, 0xcc, v40
	v_mov_b32_e32 v1, v41
	v_lshlrev_b64 v[0:1], 3, v[0:1]
	v_add_u32_e32 v4, 0x110, v40
	v_add_co_u32_e32 v0, vcc, v8, v0
	v_addc_co_u32_e32 v1, vcc, v7, v1, vcc
	global_store_dwordx2 v[0:1], v[2:3], off
	v_mov_b32_e32 v5, v41
	ds_read2_b64 v[0:3], v9 offset0:16 offset1:84
	v_lshlrev_b64 v[4:5], 3, v[4:5]
	;; [unrolled: 14-line block ×3, first 2 shown]
	v_add_co_u32_e32 v4, vcc, v8, v4
	v_addc_co_u32_e32 v5, vcc, v7, v5, vcc
	s_waitcnt lgkmcnt(0)
	global_store_dwordx2 v[4:5], v[0:1], off
	v_add_u32_e32 v0, 0x1dc, v40
	v_mov_b32_e32 v1, v41
	v_lshlrev_b64 v[0:1], 3, v[0:1]
	v_add_u32_e32 v4, 0x220, v40
	v_add_co_u32_e32 v0, vcc, v8, v0
	v_addc_co_u32_e32 v1, vcc, v7, v1, vcc
	global_store_dwordx2 v[0:1], v[2:3], off
	v_add_u32_e32 v0, 0x1000, v6
	v_mov_b32_e32 v5, v41
	ds_read2_b64 v[0:3], v0 offset0:32 offset1:100
	v_lshlrev_b64 v[4:5], 3, v[4:5]
	v_add_co_u32_e32 v4, vcc, v8, v4
	v_addc_co_u32_e32 v5, vcc, v7, v5, vcc
	s_waitcnt lgkmcnt(0)
	global_store_dwordx2 v[4:5], v[0:1], off
	v_add_u32_e32 v0, 0x264, v40
	v_mov_b32_e32 v1, v41
	v_lshlrev_b64 v[0:1], 3, v[0:1]
	v_add_u32_e32 v40, 0x2a8, v40
	v_add_co_u32_e32 v0, vcc, v8, v0
	v_addc_co_u32_e32 v1, vcc, v7, v1, vcc
	global_store_dwordx2 v[0:1], v[2:3], off
	ds_read_b64 v[0:1], v6 offset:5440
	v_lshlrev_b64 v[2:3], 3, v[40:41]
	v_add_co_u32_e32 v2, vcc, v8, v2
	v_addc_co_u32_e32 v3, vcc, v7, v3, vcc
	s_waitcnt lgkmcnt(0)
	global_store_dwordx2 v[2:3], v[0:1], off
.LBB0_28:
	s_endpgm
	.section	.rodata,"a",@progbits
	.p2align	6, 0x0
	.amdhsa_kernel fft_rtc_back_len748_factors_17_4_11_wgs_204_tpt_68_halfLds_sp_op_CI_CI_unitstride_sbrr_C2R_dirReg
		.amdhsa_group_segment_fixed_size 0
		.amdhsa_private_segment_fixed_size 0
		.amdhsa_kernarg_size 104
		.amdhsa_user_sgpr_count 6
		.amdhsa_user_sgpr_private_segment_buffer 1
		.amdhsa_user_sgpr_dispatch_ptr 0
		.amdhsa_user_sgpr_queue_ptr 0
		.amdhsa_user_sgpr_kernarg_segment_ptr 1
		.amdhsa_user_sgpr_dispatch_id 0
		.amdhsa_user_sgpr_flat_scratch_init 0
		.amdhsa_user_sgpr_private_segment_size 0
		.amdhsa_uses_dynamic_stack 0
		.amdhsa_system_sgpr_private_segment_wavefront_offset 0
		.amdhsa_system_sgpr_workgroup_id_x 1
		.amdhsa_system_sgpr_workgroup_id_y 0
		.amdhsa_system_sgpr_workgroup_id_z 0
		.amdhsa_system_sgpr_workgroup_info 0
		.amdhsa_system_vgpr_workitem_id 0
		.amdhsa_next_free_vgpr 139
		.amdhsa_next_free_sgpr 28
		.amdhsa_reserve_vcc 1
		.amdhsa_reserve_flat_scratch 0
		.amdhsa_float_round_mode_32 0
		.amdhsa_float_round_mode_16_64 0
		.amdhsa_float_denorm_mode_32 3
		.amdhsa_float_denorm_mode_16_64 3
		.amdhsa_dx10_clamp 1
		.amdhsa_ieee_mode 1
		.amdhsa_fp16_overflow 0
		.amdhsa_exception_fp_ieee_invalid_op 0
		.amdhsa_exception_fp_denorm_src 0
		.amdhsa_exception_fp_ieee_div_zero 0
		.amdhsa_exception_fp_ieee_overflow 0
		.amdhsa_exception_fp_ieee_underflow 0
		.amdhsa_exception_fp_ieee_inexact 0
		.amdhsa_exception_int_div_zero 0
	.end_amdhsa_kernel
	.text
.Lfunc_end0:
	.size	fft_rtc_back_len748_factors_17_4_11_wgs_204_tpt_68_halfLds_sp_op_CI_CI_unitstride_sbrr_C2R_dirReg, .Lfunc_end0-fft_rtc_back_len748_factors_17_4_11_wgs_204_tpt_68_halfLds_sp_op_CI_CI_unitstride_sbrr_C2R_dirReg
                                        ; -- End function
	.section	.AMDGPU.csdata,"",@progbits
; Kernel info:
; codeLenInByte = 11600
; NumSgprs: 32
; NumVgprs: 139
; ScratchSize: 0
; MemoryBound: 0
; FloatMode: 240
; IeeeMode: 1
; LDSByteSize: 0 bytes/workgroup (compile time only)
; SGPRBlocks: 3
; VGPRBlocks: 34
; NumSGPRsForWavesPerEU: 32
; NumVGPRsForWavesPerEU: 139
; Occupancy: 1
; WaveLimiterHint : 1
; COMPUTE_PGM_RSRC2:SCRATCH_EN: 0
; COMPUTE_PGM_RSRC2:USER_SGPR: 6
; COMPUTE_PGM_RSRC2:TRAP_HANDLER: 0
; COMPUTE_PGM_RSRC2:TGID_X_EN: 1
; COMPUTE_PGM_RSRC2:TGID_Y_EN: 0
; COMPUTE_PGM_RSRC2:TGID_Z_EN: 0
; COMPUTE_PGM_RSRC2:TIDIG_COMP_CNT: 0
	.type	__hip_cuid_5bba0868f2eb2df2,@object ; @__hip_cuid_5bba0868f2eb2df2
	.section	.bss,"aw",@nobits
	.globl	__hip_cuid_5bba0868f2eb2df2
__hip_cuid_5bba0868f2eb2df2:
	.byte	0                               ; 0x0
	.size	__hip_cuid_5bba0868f2eb2df2, 1

	.ident	"AMD clang version 19.0.0git (https://github.com/RadeonOpenCompute/llvm-project roc-6.4.0 25133 c7fe45cf4b819c5991fe208aaa96edf142730f1d)"
	.section	".note.GNU-stack","",@progbits
	.addrsig
	.addrsig_sym __hip_cuid_5bba0868f2eb2df2
	.amdgpu_metadata
---
amdhsa.kernels:
  - .args:
      - .actual_access:  read_only
        .address_space:  global
        .offset:         0
        .size:           8
        .value_kind:     global_buffer
      - .offset:         8
        .size:           8
        .value_kind:     by_value
      - .actual_access:  read_only
        .address_space:  global
        .offset:         16
        .size:           8
        .value_kind:     global_buffer
      - .actual_access:  read_only
        .address_space:  global
        .offset:         24
        .size:           8
        .value_kind:     global_buffer
      - .actual_access:  read_only
        .address_space:  global
        .offset:         32
        .size:           8
        .value_kind:     global_buffer
      - .offset:         40
        .size:           8
        .value_kind:     by_value
      - .actual_access:  read_only
        .address_space:  global
        .offset:         48
        .size:           8
        .value_kind:     global_buffer
      - .actual_access:  read_only
        .address_space:  global
        .offset:         56
        .size:           8
        .value_kind:     global_buffer
      - .offset:         64
        .size:           4
        .value_kind:     by_value
      - .actual_access:  read_only
        .address_space:  global
        .offset:         72
        .size:           8
        .value_kind:     global_buffer
      - .actual_access:  read_only
        .address_space:  global
        .offset:         80
        .size:           8
        .value_kind:     global_buffer
      - .actual_access:  read_only
        .address_space:  global
        .offset:         88
        .size:           8
        .value_kind:     global_buffer
      - .actual_access:  write_only
        .address_space:  global
        .offset:         96
        .size:           8
        .value_kind:     global_buffer
    .group_segment_fixed_size: 0
    .kernarg_segment_align: 8
    .kernarg_segment_size: 104
    .language:       OpenCL C
    .language_version:
      - 2
      - 0
    .max_flat_workgroup_size: 204
    .name:           fft_rtc_back_len748_factors_17_4_11_wgs_204_tpt_68_halfLds_sp_op_CI_CI_unitstride_sbrr_C2R_dirReg
    .private_segment_fixed_size: 0
    .sgpr_count:     32
    .sgpr_spill_count: 0
    .symbol:         fft_rtc_back_len748_factors_17_4_11_wgs_204_tpt_68_halfLds_sp_op_CI_CI_unitstride_sbrr_C2R_dirReg.kd
    .uniform_work_group_size: 1
    .uses_dynamic_stack: false
    .vgpr_count:     139
    .vgpr_spill_count: 0
    .wavefront_size: 64
amdhsa.target:   amdgcn-amd-amdhsa--gfx906
amdhsa.version:
  - 1
  - 2
...

	.end_amdgpu_metadata
